;; amdgpu-corpus repo=ROCm/rocFFT kind=compiled arch=gfx950 opt=O3
	.text
	.amdgcn_target "amdgcn-amd-amdhsa--gfx950"
	.amdhsa_code_object_version 6
	.protected	fft_rtc_fwd_len1925_factors_7_11_5_5_wgs_55_tpt_55_halfLds_sp_op_CI_CI_unitstride_sbrr_dirReg ; -- Begin function fft_rtc_fwd_len1925_factors_7_11_5_5_wgs_55_tpt_55_halfLds_sp_op_CI_CI_unitstride_sbrr_dirReg
	.globl	fft_rtc_fwd_len1925_factors_7_11_5_5_wgs_55_tpt_55_halfLds_sp_op_CI_CI_unitstride_sbrr_dirReg
	.p2align	8
	.type	fft_rtc_fwd_len1925_factors_7_11_5_5_wgs_55_tpt_55_halfLds_sp_op_CI_CI_unitstride_sbrr_dirReg,@function
fft_rtc_fwd_len1925_factors_7_11_5_5_wgs_55_tpt_55_halfLds_sp_op_CI_CI_unitstride_sbrr_dirReg: ; @fft_rtc_fwd_len1925_factors_7_11_5_5_wgs_55_tpt_55_halfLds_sp_op_CI_CI_unitstride_sbrr_dirReg
; %bb.0:
	s_load_dwordx4 s[8:11], s[0:1], 0x58
	s_load_dwordx4 s[4:7], s[0:1], 0x0
	;; [unrolled: 1-line block ×3, first 2 shown]
	v_mul_u32_u24_e32 v1, 0x4a8, v0
	v_add_u32_sdwa v10, s2, v1 dst_sel:DWORD dst_unused:UNUSED_PAD src0_sel:DWORD src1_sel:WORD_1
	v_mov_b32_e32 v8, 0
	s_waitcnt lgkmcnt(0)
	v_cmp_lt_u64_e64 s[2:3], s[6:7], 2
	v_mov_b32_e32 v11, v8
	s_and_b64 vcc, exec, s[2:3]
	v_mov_b64_e32 v[6:7], 0
	s_cbranch_vccnz .LBB0_8
; %bb.1:
	s_load_dwordx2 s[2:3], s[0:1], 0x10
	s_add_u32 s16, s14, 8
	s_addc_u32 s17, s15, 0
	s_add_u32 s18, s12, 8
	s_addc_u32 s19, s13, 0
	s_waitcnt lgkmcnt(0)
	s_add_u32 s20, s2, 8
	v_mov_b64_e32 v[6:7], 0
	s_addc_u32 s21, s3, 0
	s_mov_b64 s[22:23], 1
	v_mov_b64_e32 v[2:3], v[6:7]
.LBB0_2:                                ; =>This Inner Loop Header: Depth=1
	s_load_dwordx2 s[24:25], s[20:21], 0x0
                                        ; implicit-def: $vgpr4_vgpr5
	s_waitcnt lgkmcnt(0)
	v_or_b32_e32 v9, s25, v11
	v_cmp_ne_u64_e32 vcc, 0, v[8:9]
	s_and_saveexec_b64 s[2:3], vcc
	s_xor_b64 s[26:27], exec, s[2:3]
	s_cbranch_execz .LBB0_4
; %bb.3:                                ;   in Loop: Header=BB0_2 Depth=1
	v_cvt_f32_u32_e32 v1, s24
	v_cvt_f32_u32_e32 v4, s25
	s_sub_u32 s2, 0, s24
	s_subb_u32 s3, 0, s25
	v_fmac_f32_e32 v1, 0x4f800000, v4
	v_rcp_f32_e32 v1, v1
	s_nop 0
	v_mul_f32_e32 v1, 0x5f7ffffc, v1
	v_mul_f32_e32 v4, 0x2f800000, v1
	v_trunc_f32_e32 v4, v4
	v_fmac_f32_e32 v1, 0xcf800000, v4
	v_cvt_u32_f32_e32 v9, v4
	v_cvt_u32_f32_e32 v1, v1
	v_mul_lo_u32 v4, s2, v9
	v_mul_hi_u32 v12, s2, v1
	v_mul_lo_u32 v5, s3, v1
	v_add_u32_e32 v12, v12, v4
	v_mul_lo_u32 v14, s2, v1
	v_add_u32_e32 v15, v12, v5
	v_mul_hi_u32 v4, v1, v14
	v_mul_hi_u32 v13, v1, v15
	v_mul_lo_u32 v12, v1, v15
	v_mov_b32_e32 v5, v8
	v_lshl_add_u64 v[4:5], v[4:5], 0, v[12:13]
	v_mul_hi_u32 v13, v9, v14
	v_mul_lo_u32 v14, v9, v14
	v_add_co_u32_e32 v4, vcc, v4, v14
	v_mul_hi_u32 v12, v9, v15
	s_nop 0
	v_addc_co_u32_e32 v4, vcc, v5, v13, vcc
	v_mov_b32_e32 v5, v8
	s_nop 0
	v_addc_co_u32_e32 v13, vcc, 0, v12, vcc
	v_mul_lo_u32 v12, v9, v15
	v_lshl_add_u64 v[4:5], v[4:5], 0, v[12:13]
	v_add_co_u32_e32 v1, vcc, v1, v4
	v_mul_lo_u32 v12, s2, v1
	s_nop 0
	v_addc_co_u32_e32 v9, vcc, v9, v5, vcc
	v_mul_lo_u32 v4, s2, v9
	v_mul_hi_u32 v5, s2, v1
	v_add_u32_e32 v4, v5, v4
	v_mul_lo_u32 v5, s3, v1
	v_add_u32_e32 v14, v4, v5
	v_mul_hi_u32 v16, v9, v12
	v_mul_lo_u32 v17, v9, v12
	v_mul_hi_u32 v5, v1, v14
	v_mul_lo_u32 v4, v1, v14
	v_mul_hi_u32 v12, v1, v12
	v_mov_b32_e32 v13, v8
	v_lshl_add_u64 v[4:5], v[12:13], 0, v[4:5]
	v_add_co_u32_e32 v4, vcc, v4, v17
	v_mul_hi_u32 v15, v9, v14
	s_nop 0
	v_addc_co_u32_e32 v4, vcc, v5, v16, vcc
	v_mul_lo_u32 v12, v9, v14
	s_nop 0
	v_addc_co_u32_e32 v13, vcc, 0, v15, vcc
	v_mov_b32_e32 v5, v8
	v_lshl_add_u64 v[4:5], v[4:5], 0, v[12:13]
	v_add_co_u32_e32 v1, vcc, v1, v4
	v_mul_hi_u32 v12, v10, v1
	s_nop 0
	v_addc_co_u32_e32 v9, vcc, v9, v5, vcc
	v_mad_u64_u32 v[4:5], s[2:3], v10, v9, 0
	v_mov_b32_e32 v13, v8
	v_lshl_add_u64 v[4:5], v[12:13], 0, v[4:5]
	v_mad_u64_u32 v[14:15], s[2:3], v11, v1, 0
	v_add_co_u32_e32 v1, vcc, v4, v14
	v_mad_u64_u32 v[12:13], s[2:3], v11, v9, 0
	s_nop 0
	v_addc_co_u32_e32 v4, vcc, v5, v15, vcc
	v_mov_b32_e32 v5, v8
	s_nop 0
	v_addc_co_u32_e32 v13, vcc, 0, v13, vcc
	v_lshl_add_u64 v[4:5], v[4:5], 0, v[12:13]
	v_mul_lo_u32 v1, s25, v4
	v_mul_lo_u32 v9, s24, v5
	v_mad_u64_u32 v[12:13], s[2:3], s24, v4, 0
	v_add3_u32 v1, v13, v9, v1
	v_sub_u32_e32 v9, v11, v1
	v_mov_b32_e32 v13, s25
	v_sub_co_u32_e32 v16, vcc, v10, v12
	v_lshl_add_u64 v[14:15], v[4:5], 0, 1
	s_nop 0
	v_subb_co_u32_e64 v9, s[2:3], v9, v13, vcc
	v_subrev_co_u32_e64 v12, s[2:3], s24, v16
	v_subb_co_u32_e32 v1, vcc, v11, v1, vcc
	s_nop 0
	v_subbrev_co_u32_e64 v9, s[2:3], 0, v9, s[2:3]
	v_cmp_le_u32_e64 s[2:3], s25, v9
	v_cmp_le_u32_e32 vcc, s25, v1
	s_nop 0
	v_cndmask_b32_e64 v13, 0, -1, s[2:3]
	v_cmp_le_u32_e64 s[2:3], s24, v12
	s_nop 1
	v_cndmask_b32_e64 v12, 0, -1, s[2:3]
	v_cmp_eq_u32_e64 s[2:3], s25, v9
	s_nop 1
	v_cndmask_b32_e64 v9, v13, v12, s[2:3]
	v_lshl_add_u64 v[12:13], v[4:5], 0, 2
	v_cmp_ne_u32_e64 s[2:3], 0, v9
	s_nop 1
	v_cndmask_b32_e64 v9, v15, v13, s[2:3]
	v_cndmask_b32_e64 v13, 0, -1, vcc
	v_cmp_le_u32_e32 vcc, s24, v16
	s_nop 1
	v_cndmask_b32_e64 v15, 0, -1, vcc
	v_cmp_eq_u32_e32 vcc, s25, v1
	s_nop 1
	v_cndmask_b32_e32 v1, v13, v15, vcc
	v_cmp_ne_u32_e32 vcc, 0, v1
	v_cndmask_b32_e64 v1, v14, v12, s[2:3]
	s_nop 0
	v_cndmask_b32_e32 v5, v5, v9, vcc
	v_cndmask_b32_e32 v4, v4, v1, vcc
.LBB0_4:                                ;   in Loop: Header=BB0_2 Depth=1
	s_andn2_saveexec_b64 s[2:3], s[26:27]
	s_cbranch_execz .LBB0_6
; %bb.5:                                ;   in Loop: Header=BB0_2 Depth=1
	v_cvt_f32_u32_e32 v1, s24
	s_sub_i32 s26, 0, s24
	v_rcp_iflag_f32_e32 v1, v1
	s_nop 0
	v_mul_f32_e32 v1, 0x4f7ffffe, v1
	v_cvt_u32_f32_e32 v1, v1
	v_mul_lo_u32 v4, s26, v1
	v_mul_hi_u32 v4, v1, v4
	v_add_u32_e32 v1, v1, v4
	v_mul_hi_u32 v1, v10, v1
	v_mul_lo_u32 v4, v1, s24
	v_sub_u32_e32 v4, v10, v4
	v_add_u32_e32 v5, 1, v1
	v_subrev_u32_e32 v9, s24, v4
	v_cmp_le_u32_e32 vcc, s24, v4
	s_nop 1
	v_cndmask_b32_e32 v4, v4, v9, vcc
	v_cndmask_b32_e32 v1, v1, v5, vcc
	v_add_u32_e32 v5, 1, v1
	v_cmp_le_u32_e32 vcc, s24, v4
	s_nop 1
	v_cndmask_b32_e32 v4, v1, v5, vcc
	v_mov_b32_e32 v5, v8
.LBB0_6:                                ;   in Loop: Header=BB0_2 Depth=1
	s_or_b64 exec, exec, s[2:3]
	v_mad_u64_u32 v[12:13], s[2:3], v4, s24, 0
	s_load_dwordx2 s[2:3], s[18:19], 0x0
	v_mul_lo_u32 v1, v5, s24
	v_mul_lo_u32 v9, v4, s25
	s_load_dwordx2 s[24:25], s[16:17], 0x0
	s_add_u32 s22, s22, 1
	v_add3_u32 v1, v13, v9, v1
	v_sub_co_u32_e32 v9, vcc, v10, v12
	s_addc_u32 s23, s23, 0
	s_nop 0
	v_subb_co_u32_e32 v1, vcc, v11, v1, vcc
	s_add_u32 s16, s16, 8
	s_waitcnt lgkmcnt(0)
	v_mul_lo_u32 v10, s2, v1
	v_mul_lo_u32 v11, s3, v9
	v_mad_u64_u32 v[6:7], s[2:3], s2, v9, v[6:7]
	s_addc_u32 s17, s17, 0
	v_add3_u32 v7, v11, v7, v10
	v_mul_lo_u32 v1, s24, v1
	v_mul_lo_u32 v10, s25, v9
	v_mad_u64_u32 v[2:3], s[2:3], s24, v9, v[2:3]
	s_add_u32 s18, s18, 8
	v_add3_u32 v3, v10, v3, v1
	s_addc_u32 s19, s19, 0
	v_mov_b64_e32 v[10:11], s[6:7]
	s_add_u32 s20, s20, 8
	v_cmp_ge_u64_e32 vcc, s[22:23], v[10:11]
	s_addc_u32 s21, s21, 0
	s_cbranch_vccnz .LBB0_9
; %bb.7:                                ;   in Loop: Header=BB0_2 Depth=1
	v_mov_b64_e32 v[10:11], v[4:5]
	s_branch .LBB0_2
.LBB0_8:
	v_mov_b64_e32 v[2:3], v[6:7]
	v_mov_b64_e32 v[4:5], v[10:11]
.LBB0_9:
	s_load_dwordx2 s[0:1], s[0:1], 0x28
	s_lshl_b64 s[16:17], s[6:7], 3
	s_add_u32 s2, s14, s16
	s_addc_u32 s3, s15, s17
                                        ; implicit-def: $sgpr14_sgpr15
                                        ; implicit-def: $vgpr118
	s_waitcnt lgkmcnt(0)
	v_cmp_gt_u64_e32 vcc, s[0:1], v[4:5]
	v_cmp_le_u64_e64 s[0:1], s[0:1], v[4:5]
	s_and_saveexec_b64 s[6:7], s[0:1]
	s_xor_b64 s[0:1], exec, s[6:7]
; %bb.10:
	s_mov_b32 s6, 0x4a7904b
	v_mul_hi_u32 v1, v0, s6
	v_mul_u32_u24_e32 v1, 55, v1
	v_sub_u32_e32 v118, v0, v1
	s_mov_b64 s[14:15], 0
                                        ; implicit-def: $vgpr0
                                        ; implicit-def: $vgpr6_vgpr7
; %bb.11:
	s_or_saveexec_b64 s[6:7], s[0:1]
	v_mov_b64_e32 v[68:69], s[14:15]
	v_mov_b64_e32 v[74:75], s[14:15]
	;; [unrolled: 1-line block ×20, first 2 shown]
                                        ; implicit-def: $vgpr104
                                        ; implicit-def: $vgpr106
                                        ; implicit-def: $vgpr78
                                        ; implicit-def: $vgpr86
                                        ; implicit-def: $vgpr42
                                        ; implicit-def: $vgpr44
                                        ; implicit-def: $vgpr48
                                        ; implicit-def: $vgpr30
                                        ; implicit-def: $vgpr34
                                        ; implicit-def: $vgpr28
                                        ; implicit-def: $vgpr62
                                        ; implicit-def: $vgpr50
                                        ; implicit-def: $vgpr58
                                        ; implicit-def: $vgpr80
                                        ; implicit-def: $vgpr108
	s_xor_b64 exec, exec, s[6:7]
	s_cbranch_execz .LBB0_13
; %bb.12:
	s_add_u32 s0, s12, s16
	s_addc_u32 s1, s13, s17
	s_load_dwordx2 s[0:1], s[0:1], 0x0
	s_mov_b32 s12, 0x4a7904b
	s_waitcnt lgkmcnt(0)
	v_mul_lo_u32 v1, s1, v4
	v_mul_lo_u32 v10, s0, v5
	v_mad_u64_u32 v[8:9], s[0:1], s0, v4, 0
	v_add3_u32 v9, v9, v10, v1
	v_mul_hi_u32 v1, v0, s12
	v_mul_u32_u24_e32 v1, 55, v1
	v_sub_u32_e32 v118, v0, v1
	v_lshl_add_u64 v[0:1], v[8:9], 3, s[8:9]
	v_lshl_add_u64 v[0:1], v[6:7], 3, v[0:1]
	v_lshlrev_b32_e32 v6, 3, v118
	v_mov_b32_e32 v7, 0
	v_lshl_add_u64 v[0:1], v[0:1], 0, v[6:7]
	s_movk_i32 s0, 0x1000
	v_add_co_u32_e64 v6, s[0:1], s0, v0
	s_nop 1
	v_addc_co_u32_e64 v7, s[0:1], 0, v1, s[0:1]
	s_movk_i32 s0, 0x2000
	s_nop 0
	v_add_co_u32_e64 v12, s[0:1], s0, v0
	s_nop 1
	v_addc_co_u32_e64 v13, s[0:1], 0, v1, s[0:1]
	s_movk_i32 s0, 0x3000
	s_nop 0
	v_add_co_u32_e64 v14, s[0:1], s0, v0
	s_nop 1
	v_addc_co_u32_e64 v15, s[0:1], 0, v1, s[0:1]
	global_load_dwordx2 v[36:37], v[0:1], off offset:3080
	global_load_dwordx2 v[50:51], v[12:13], off offset:3688
	global_load_dwordx2 v[60:61], v[0:1], off
	global_load_dwordx2 v[46:47], v[0:1], off offset:440
	global_load_dwordx2 v[32:33], v[0:1], off offset:880
	global_load_dwordx2 v[20:21], v[0:1], off offset:1320
	global_load_dwordx2 v[22:23], v[0:1], off offset:3520
	global_load_dwordx2 v[38:39], v[6:7], off offset:1184
	global_load_dwordx2 v[24:25], v[6:7], off offset:1624
	global_load_dwordx2 v[64:65], v[12:13], off offset:608
	global_load_dwordx2 v[52:53], v[12:13], off offset:1048
	global_load_dwordx2 v[40:41], v[12:13], off offset:1488
	global_load_dwordx2 v[26:27], v[12:13], off offset:1928
	global_load_dwordx2 v[54:55], v[0:1], off offset:2640
	global_load_dwordx2 v[68:69], v[0:1], off offset:2200
	global_load_dwordx2 v[8:9], v[0:1], off offset:1760
	global_load_dwordx2 v[56:57], v[6:7], off offset:744
	global_load_dwordx2 v[74:75], v[6:7], off offset:304
	global_load_dwordx2 v[10:11], v[0:1], off offset:3960
	global_load_dwordx2 v[104:105], v[6:7], off offset:2504
	global_load_dwordx2 v[16:17], v[6:7], off offset:2064
	global_load_dwordx2 v[80:81], v[6:7], off offset:2944
	global_load_dwordx2 v[58:59], v[6:7], off offset:3384
	global_load_dwordx2 v[42:43], v[6:7], off offset:3824
	global_load_dwordx2 v[28:29], v[12:13], off offset:168
	global_load_dwordx2 v[78:79], v[12:13], off offset:3248
	global_load_dwordx2 v[106:107], v[12:13], off offset:2808
	global_load_dwordx2 v[18:19], v[12:13], off offset:2368
	global_load_dwordx2 v[44:45], v[14:15], off offset:32
	global_load_dwordx2 v[86:87], v[14:15], off offset:1352
                                        ; kill: killed $vgpr0 killed $vgpr1
                                        ; kill: killed $vgpr6 killed $vgpr7
                                        ; kill: killed $vgpr12 killed $vgpr13
	global_load_dwordx2 v[108:109], v[14:15], off offset:912
	global_load_dwordx2 v[30:31], v[14:15], off offset:472
	;; [unrolled: 1-line block ×5, first 2 shown]
.LBB0_13:
	s_or_b64 exec, exec, s[6:7]
	s_waitcnt vmcnt(4)
	v_add_f32_e32 v1, v108, v68
	v_add_f32_e32 v6, v106, v74
	;; [unrolled: 1-line block ×4, first 2 shown]
	v_sub_f32_e32 v14, v1, v0
	v_sub_f32_e32 v72, v6, v1
	v_pk_add_f32 v[12:13], v[0:1], v[6:7] neg_lo:[0,1] neg_hi:[0,1]
	v_pk_add_f32 v[0:1], v[0:1], v[6:7] op_sel_hi:[0,1]
	s_mov_b32 s6, 0x3d64c772
	v_mov_b32_e32 v13, v1
	s_mov_b32 s7, 0x3f955555
	s_mov_b32 s12, 0x3f3bfb3b
	v_pk_mul_f32 v[6:7], v[12:13], s[6:7]
	v_sub_f32_e32 v76, v65, v105
	v_fma_f32 v7, v72, s12, -v6
	v_sub_f32_e32 v6, v75, v107
	v_sub_f32_e32 v73, v69, v109
	;; [unrolled: 1-line block ×3, first 2 shown]
	v_add_f32_e32 v1, v1, v60
	v_mul_f32_e32 v0, 0x3f4a47b2, v14
	v_add_f32_e32 v14, v6, v76
	v_sub_f32_e32 v77, v6, v73
	s_mov_b32 s13, 0x3f5ff5aa
	v_mul_f32_e32 v6, 0xbf08b237, v15
	v_add_f32_e32 v82, v73, v14
	v_fma_f32 v14, v77, s13, -v6
	v_pk_fma_f32 v[66:67], v[12:13], s[6:7], v[0:1] neg_lo:[1,0,0] neg_hi:[1,0,0]
	v_fmac_f32_e32 v14, 0x3ee1c552, v82
	v_add_f32_e32 v60, v7, v67
	v_pk_add_f32 v[70:71], v[60:61], v[14:15] neg_lo:[0,1] neg_hi:[0,1]
	v_pk_add_f32 v[14:15], v[60:61], v[14:15]
	s_mov_b32 s14, 0xbf3bfb3b
	v_mad_u32_u24 v120, v118, 28, 0
	v_pk_fma_f32 v[12:13], v[12:13], s[6:7], v[0:1]
	v_fma_f32 v15, v72, s14, -v0
	v_sub_f32_e32 v0, v73, v76
	v_mul_f32_e32 v7, 0x3f5ff5aa, v77
	s_mov_b32 s15, 0xbeae86e6
	ds_write2_b32 v120, v70, v14 offset0:3 offset1:4
	v_mov_b32_e32 v13, v67
	v_mov_b32_e32 v14, v67
	v_fma_f32 v7, v0, s15, -v7
	v_fmac_f32_e32 v6, 0x3eae86e6, v0
	v_mul_f32_e32 v0, 0x3ee1c552, v82
	v_pk_add_f32 v[12:13], v[12:13], v[14:15]
	v_pk_add_f32 v[14:15], v[6:7], v[0:1] op_sel_hi:[1,0]
	v_add_f32_e32 v60, v86, v54
	v_pk_add_f32 v[6:7], v[12:13], v[14:15] neg_lo:[0,1] neg_hi:[0,1]
	ds_write2_b32 v120, v7, v6 offset0:5 offset1:6
	v_add_f32_e32 v6, v78, v56
	v_add_f32_e32 v7, v60, v6
	;; [unrolled: 1-line block ×3, first 2 shown]
	v_sub_f32_e32 v66, v60, v0
	v_sub_f32_e32 v60, v6, v60
	v_pk_add_f32 v[70:71], v[0:1], v[6:7] neg_lo:[0,1] neg_hi:[0,1]
	v_pk_add_f32 v[6:7], v[0:1], v[6:7] op_sel_hi:[0,1]
	v_mov_b32_e32 v71, v7
	v_add_f32_e32 v67, v7, v46
	v_pk_mul_f32 v[6:7], v[70:71], s[6:7]
	v_sub_f32_e32 v0, v57, v79
	v_sub_f32_e32 v85, v53, v81
	v_fma_f32 v7, v60, s12, -v6
	v_sub_f32_e32 v84, v55, v87
	v_add_f32_e32 v6, v0, v85
	v_sub_f32_e32 v46, v85, v0
	v_mul_f32_e32 v66, 0x3f4a47b2, v66
	v_sub_f32_e32 v88, v0, v84
	v_add_f32_e32 v89, v84, v6
	v_mul_f32_e32 v6, 0xbf08b237, v46
	v_fma_f32 v0, v88, s13, -v6
	v_pk_fma_f32 v[72:73], v[70:71], s[6:7], v[66:67] neg_lo:[1,0,0] neg_hi:[1,0,0]
	v_fmac_f32_e32 v0, 0x3ee1c552, v89
	v_add_f32_e32 v46, v7, v73
	v_pk_add_f32 v[76:77], v[46:47], v[0:1] neg_lo:[0,1] neg_hi:[0,1]
	v_pk_add_f32 v[82:83], v[46:47], v[0:1]
	v_pk_fma_f32 v[70:71], v[70:71], s[6:7], v[66:67]
	v_sub_f32_e32 v0, v84, v85
	v_mul_f32_e32 v7, 0x3f5ff5aa, v88
	v_mov_b32_e32 v71, v73
	v_mov_b32_e32 v72, v73
	v_fma_f32 v73, v60, s14, -v66
	v_fma_f32 v7, v0, s15, -v7
	v_fmac_f32_e32 v6, 0x3eae86e6, v0
	v_mul_f32_e32 v0, 0x3ee1c552, v89
	v_pk_add_f32 v[70:71], v[70:71], v[72:73]
	v_pk_add_f32 v[72:73], v[6:7], v[0:1] op_sel_hi:[1,0]
	v_add_u32_e32 v121, 0x618, v120
	v_pk_add_f32 v[6:7], v[70:71], v[72:73] neg_lo:[0,1] neg_hi:[0,1]
	ds_write2_b32 v121, v7, v6 offset1:1
	s_waitcnt vmcnt(2)
	v_add_f32_e32 v60, v62, v36
	v_add_f32_e32 v6, v50, v38
	v_add_u32_e32 v46, 0x610, v120
	v_add_f32_e32 v7, v60, v6
	v_add_f32_e32 v0, v58, v40
	ds_write2_b32 v46, v76, v82 offset1:1
	v_sub_f32_e32 v66, v60, v0
	v_sub_f32_e32 v60, v6, v60
	v_pk_add_f32 v[76:77], v[0:1], v[6:7] neg_lo:[0,1] neg_hi:[0,1]
	v_pk_add_f32 v[6:7], v[0:1], v[6:7] op_sel_hi:[0,1]
	v_mov_b32_e32 v77, v7
	v_add_f32_e32 v83, v7, v32
	v_pk_mul_f32 v[6:7], v[76:77], s[6:7]
	v_sub_f32_e32 v0, v39, v51
	v_sub_f32_e32 v92, v41, v59
	v_mul_f32_e32 v82, 0x3f4a47b2, v66
	v_fma_f32 v7, v60, s12, -v6
	v_sub_f32_e32 v66, v37, v63
	v_add_f32_e32 v6, v0, v92
	v_sub_f32_e32 v32, v92, v0
	v_sub_f32_e32 v93, v0, v66
	v_add_f32_e32 v94, v66, v6
	v_mul_f32_e32 v6, 0xbf08b237, v32
	v_fma_f32 v0, v93, s13, -v6
	v_pk_fma_f32 v[84:85], v[76:77], s[6:7], v[82:83] neg_lo:[1,0,0] neg_hi:[1,0,0]
	v_fmac_f32_e32 v0, 0x3ee1c552, v94
	v_add_f32_e32 v32, v7, v85
	v_pk_add_f32 v[88:89], v[32:33], v[0:1] neg_lo:[0,1] neg_hi:[0,1]
	v_pk_add_f32 v[90:91], v[32:33], v[0:1]
	v_pk_fma_f32 v[76:77], v[76:77], s[6:7], v[82:83]
	v_sub_f32_e32 v0, v66, v92
	v_mul_f32_e32 v7, 0x3f5ff5aa, v93
	v_mov_b32_e32 v77, v85
	v_mov_b32_e32 v84, v85
	v_fma_f32 v85, v60, s14, -v82
	v_fma_f32 v7, v0, s15, -v7
	v_fmac_f32_e32 v6, 0x3eae86e6, v0
	v_mul_f32_e32 v0, 0x3ee1c552, v94
	v_pk_add_f32 v[76:77], v[76:77], v[84:85]
	v_pk_add_f32 v[84:85], v[6:7], v[0:1] op_sel_hi:[1,0]
	v_add_u32_e32 v122, 0xc1c, v120
	v_pk_add_f32 v[6:7], v[76:77], v[84:85] neg_lo:[0,1] neg_hi:[0,1]
	ds_write2_b32 v122, v7, v6 offset1:1
	s_waitcnt vmcnt(1)
	v_add_f32_e32 v60, v48, v22
	v_add_f32_e32 v6, v44, v24
	v_add_u32_e32 v32, 0xc14, v120
	v_add_f32_e32 v7, v60, v6
	v_add_f32_e32 v0, v42, v26
	ds_write2_b32 v32, v88, v90 offset1:1
	v_sub_f32_e32 v66, v60, v0
	v_sub_f32_e32 v60, v6, v60
	v_pk_add_f32 v[88:89], v[0:1], v[6:7] neg_lo:[0,1] neg_hi:[0,1]
	v_pk_add_f32 v[6:7], v[0:1], v[6:7] op_sel_hi:[0,1]
	v_mov_b32_e32 v89, v7
	v_add_f32_e32 v91, v7, v20
	v_pk_mul_f32 v[6:7], v[88:89], s[6:7]
	v_sub_f32_e32 v0, v25, v45
	v_sub_f32_e32 v82, v27, v43
	v_mul_f32_e32 v90, 0x3f4a47b2, v66
	v_fma_f32 v7, v60, s12, -v6
	v_sub_f32_e32 v66, v23, v49
	v_add_f32_e32 v6, v0, v82
	v_sub_f32_e32 v20, v82, v0
	;; [unrolled: 44-line block ×3, first 2 shown]
	v_sub_f32_e32 v90, v0, v66
	v_add_f32_e32 v110, v66, v6
	v_mul_f32_e32 v6, 0xbf08b237, v8
	v_fma_f32 v0, v90, s13, -v6
	v_pk_fma_f32 v[98:99], v[94:95], s[6:7], v[96:97] neg_lo:[1,0,0] neg_hi:[1,0,0]
	v_fmac_f32_e32 v0, 0x3ee1c552, v110
	v_add_f32_e32 v8, v7, v99
	v_pk_add_f32 v[100:101], v[8:9], v[0:1] neg_lo:[0,1] neg_hi:[0,1]
	v_pk_add_f32 v[102:103], v[8:9], v[0:1]
	v_pk_fma_f32 v[94:95], v[94:95], s[6:7], v[96:97]
	v_sub_f32_e32 v0, v66, v82
	v_mul_f32_e32 v7, 0x3f5ff5aa, v90
	v_mov_b32_e32 v95, v99
	v_mov_b32_e32 v98, v99
	v_fma_f32 v99, v60, s14, -v96
	v_fma_f32 v7, v0, s15, -v7
	v_fmac_f32_e32 v6, 0x3eae86e6, v0
	v_mul_f32_e32 v0, 0x3ee1c552, v110
	v_pk_add_f32 v[94:95], v[94:95], v[98:99]
	v_pk_add_f32 v[98:99], v[6:7], v[0:1] op_sel_hi:[1,0]
	v_add_u32_e32 v8, 0x181c, v120
	v_add_u32_e32 v124, 0x1824, v120
	v_pk_add_f32 v[6:7], v[94:95], v[98:99] neg_lo:[0,1] neg_hi:[0,1]
	ds_write2_b32 v8, v100, v102 offset1:1
	ds_write2_b32 v124, v7, v6 offset1:1
	v_pk_add_f32 v[12:13], v[12:13], v[14:15]
	ds_write_b32 v120, v1
	ds_write2_b32 v120, v12, v13 offset0:1 offset1:2
	v_pk_add_f32 v[0:1], v[70:71], v[72:73]
	v_add_u32_e32 v130, 0x608, v120
	ds_write2_b32 v130, v0, v1 offset1:1
	v_pk_add_f32 v[0:1], v[76:77], v[84:85]
	v_add_u32_e32 v129, 0xc0c, v120
	ds_write2_b32 v129, v0, v1 offset1:1
	v_pk_add_f32 v[0:1], v[88:89], v[92:93]
	v_add_u32_e32 v128, 0x1210, v120
	s_movk_i32 s0, 0xffe8
	ds_write2_b32 v128, v0, v1 offset1:1
	v_pk_add_f32 v[0:1], v[94:95], v[98:99]
	v_add_u32_e32 v125, 0x1814, v120
	v_mad_i32_i24 v119, v118, s0, v120
	ds_write_b32 v120, v67 offset:1540
	ds_write_b32 v120, v83 offset:3080
	ds_write_b32 v120, v91 offset:4620
	ds_write_b32 v120, v97 offset:6160
	ds_write2_b32 v125, v0, v1 offset1:1
	s_load_dwordx2 s[2:3], s[2:3], 0x0
	s_waitcnt lgkmcnt(0)
	; wave barrier
	s_waitcnt lgkmcnt(0)
	v_add_u32_e32 v139, 0x400, v119
	v_add_u32_e32 v140, 0x600, v119
	;; [unrolled: 1-line block ×10, first 2 shown]
	ds_read_b32 v126, v119 offset:7440
	ds_read2_b32 v[14:15], v119 offset1:55
	ds_read2_b32 v[12:13], v119 offset0:110 offset1:175
	ds_read2_b32 v[116:117], v139 offset0:94 offset1:149
	;; [unrolled: 1-line block ×13, first 2 shown]
	ds_read2_b32 v[90:91], v133 offset1:55
	ds_read2_b32 v[84:85], v134 offset0:94 offset1:149
	v_cmp_gt_u32_e64 s[0:1], 10, v118
                                        ; implicit-def: $vgpr127
                                        ; implicit-def: $vgpr76
                                        ; implicit-def: $vgpr72
                                        ; implicit-def: $vgpr67
                                        ; implicit-def: $vgpr71
	s_and_saveexec_b64 s[8:9], s[0:1]
	s_cbranch_execz .LBB0_15
; %bb.14:
	v_add_u32_e32 v6, 0xd00, v119
	ds_read2_b32 v[0:1], v135 offset0:37 offset1:212
	ds_read2_b32 v[76:77], v131 offset0:3 offset1:178
	;; [unrolled: 1-line block ×3, first 2 shown]
	v_add_u32_e32 v6, 0x1200, v119
	ds_read2_b32 v[70:71], v6 offset0:63 offset1:238
	ds_read2_b32 v[66:67], v134 offset0:29 offset1:204
	ds_read_b32 v127, v119 offset:7660
	s_waitcnt lgkmcnt(5)
	v_mov_b32_e32 v7, v0
	v_mov_b32_e32 v6, v1
.LBB0_15:
	s_or_b64 exec, exec, s[8:9]
	v_add_f32_e32 v60, v109, v69
	v_sub_f32_e32 v69, v68, v108
	v_add_f32_e32 v0, v107, v75
	v_sub_f32_e32 v74, v74, v106
	;; [unrolled: 2-line block ×4, first 2 shown]
	v_sub_f32_e32 v60, v60, v68
	v_sub_f32_e32 v104, v64, v74
	v_add_f32_e32 v75, v74, v64
	v_sub_f32_e32 v106, v74, v69
	v_mul_f32_e32 v60, 0x3f4a47b2, v60
	v_mul_f32_e32 v74, 0xbf08b237, v104
	v_sub_f32_e32 v105, v69, v64
	v_add_f32_e32 v107, v69, v75
	v_fma_f32 v69, v65, s14, -v60
	v_fma_f32 v104, v106, s13, -v74
	v_mul_f32_e32 v64, 0x3ee1c552, v107
	v_mul_f32_e32 v75, 0x3f5ff5aa, v106
	v_fmac_f32_e32 v104, 0x3ee1c552, v107
	v_pk_add_f32 v[106:107], v[68:69], v[0:1] neg_lo:[0,1] neg_hi:[0,1]
	v_pk_add_f32 v[0:1], v[68:69], v[0:1] op_sel_hi:[0,1]
	v_mov_b32_e32 v107, v1
	v_add_f32_e32 v61, v1, v61
	v_pk_mul_f32 v[0:1], v[106:107], s[6:7]
	v_pk_fma_f32 v[108:109], v[106:107], s[6:7], v[60:61]
	v_pk_fma_f32 v[106:107], v[106:107], s[6:7], v[60:61] neg_lo:[1,0,0] neg_hi:[1,0,0]
	v_fmac_f32_e32 v74, 0x3eae86e6, v105
	v_fma_f32 v75, v105, s15, -v75
	v_mov_b32_e32 v109, v107
	v_fma_f32 v0, v65, s12, -v0
	v_mov_b32_e32 v68, v107
	v_add_f32_e32 v0, v0, v107
	v_pk_add_f32 v[68:69], v[108:109], v[68:69]
	v_pk_add_f32 v[64:65], v[74:75], v[64:65] op_sel_hi:[1,0]
	v_add_f32_e32 v55, v87, v55
	v_sub_f32_e32 v60, v54, v86
	v_sub_f32_e32 v56, v56, v78
	v_add_f32_e32 v54, v81, v53
	v_sub_f32_e32 v52, v52, v80
	v_pk_add_f32 v[74:75], v[68:69], v[64:65] neg_lo:[0,1] neg_hi:[0,1]
	v_pk_add_f32 v[106:107], v[0:1], v[104:105]
	v_pk_add_f32 v[104:105], v[0:1], v[104:105] neg_lo:[0,1] neg_hi:[0,1]
	v_pk_add_f32 v[64:65], v[64:65], v[68:69]
	v_add_f32_e32 v0, v79, v57
	v_sub_f32_e32 v53, v55, v54
	v_sub_f32_e32 v68, v52, v56
	v_add_f32_e32 v1, v55, v0
	v_sub_f32_e32 v57, v0, v55
	v_add_f32_e32 v55, v56, v52
	v_sub_f32_e32 v69, v60, v52
	v_sub_f32_e32 v78, v56, v60
	v_mul_f32_e32 v52, 0x3f4a47b2, v53
	v_mul_f32_e32 v68, 0xbf08b237, v68
	v_add_f32_e32 v79, v60, v55
	v_fma_f32 v55, v57, s14, -v52
	v_fma_f32 v60, v78, s13, -v68
	v_mul_f32_e32 v56, 0x3ee1c552, v79
	v_mul_f32_e32 v53, 0x3f5ff5aa, v78
	v_fmac_f32_e32 v60, 0x3ee1c552, v79
	v_pk_add_f32 v[78:79], v[54:55], v[0:1] neg_lo:[0,1] neg_hi:[0,1]
	v_pk_add_f32 v[0:1], v[54:55], v[0:1] op_sel_hi:[0,1]
	v_mov_b32_e32 v79, v1
	v_fmac_f32_e32 v68, 0x3eae86e6, v69
	v_fma_f32 v69, v69, s15, -v53
	v_add_f32_e32 v53, v1, v47
	v_pk_mul_f32 v[0:1], v[78:79], s[6:7]
	v_pk_fma_f32 v[80:81], v[78:79], s[6:7], v[52:53]
	v_pk_fma_f32 v[78:79], v[78:79], s[6:7], v[52:53] neg_lo:[1,0,0] neg_hi:[1,0,0]
	v_fma_f32 v0, v57, s12, -v0
	v_mov_b32_e32 v81, v79
	v_add_f32_e32 v0, v0, v79
	v_mov_b32_e32 v54, v79
	v_pk_add_f32 v[54:55], v[80:81], v[54:55]
	v_pk_add_f32 v[78:79], v[0:1], v[60:61]
	v_pk_add_f32 v[80:81], v[0:1], v[60:61] neg_lo:[0,1] neg_hi:[0,1]
	v_add_f32_e32 v37, v63, v37
	v_sub_f32_e32 v47, v36, v62
	v_add_f32_e32 v0, v51, v39
	v_add_f32_e32 v36, v59, v41
	v_sub_f32_e32 v38, v38, v50
	v_sub_f32_e32 v39, v40, v58
	v_add_f32_e32 v1, v37, v0
	v_sub_f32_e32 v41, v0, v37
	v_sub_f32_e32 v37, v37, v36
	v_pk_add_f32 v[56:57], v[68:69], v[56:57] op_sel_hi:[1,0]
	v_add_f32_e32 v40, v38, v39
	v_sub_f32_e32 v50, v39, v38
	v_sub_f32_e32 v51, v38, v47
	v_mul_f32_e32 v38, 0x3f4a47b2, v37
	v_pk_add_f32 v[68:69], v[54:55], v[56:57] neg_lo:[0,1] neg_hi:[0,1]
	v_pk_add_f32 v[54:55], v[56:57], v[54:55]
	v_sub_f32_e32 v39, v47, v39
	v_mul_f32_e32 v50, 0xbf08b237, v50
	v_mul_f32_e32 v56, 0x3f5ff5aa, v51
	v_fma_f32 v37, v41, s14, -v38
	v_fma_f32 v52, v51, s13, -v50
	;; [unrolled: 1-line block ×3, first 2 shown]
	v_pk_add_f32 v[56:57], v[36:37], v[0:1] neg_lo:[0,1] neg_hi:[0,1]
	v_pk_add_f32 v[0:1], v[36:37], v[0:1] op_sel_hi:[0,1]
	v_mov_b32_e32 v57, v1
	v_fmac_f32_e32 v50, 0x3eae86e6, v39
	v_add_f32_e32 v39, v1, v33
	v_pk_mul_f32 v[0:1], v[56:57], s[6:7]
	v_add_f32_e32 v47, v47, v40
	v_pk_fma_f32 v[58:59], v[56:57], s[6:7], v[38:39]
	v_pk_fma_f32 v[56:57], v[56:57], s[6:7], v[38:39] neg_lo:[1,0,0] neg_hi:[1,0,0]
	v_fma_f32 v0, v41, s12, -v0
	v_fmac_f32_e32 v52, 0x3ee1c552, v47
	v_mov_b32_e32 v59, v57
	v_add_f32_e32 v0, v0, v57
	v_mov_b32_e32 v36, v57
	v_mul_f32_e32 v40, 0x3ee1c552, v47
	v_pk_add_f32 v[36:37], v[58:59], v[36:37]
	v_pk_add_f32 v[56:57], v[0:1], v[52:53]
	v_pk_add_f32 v[58:59], v[0:1], v[52:53] neg_lo:[0,1] neg_hi:[0,1]
	v_add_f32_e32 v23, v49, v23
	v_sub_f32_e32 v33, v22, v48
	v_add_f32_e32 v0, v45, v25
	v_add_f32_e32 v22, v43, v27
	v_pk_add_f32 v[40:41], v[50:51], v[40:41] op_sel_hi:[1,0]
	v_sub_f32_e32 v24, v24, v44
	v_sub_f32_e32 v25, v26, v42
	v_add_f32_e32 v1, v23, v0
	v_sub_f32_e32 v27, v0, v23
	v_sub_f32_e32 v23, v23, v22
	v_pk_add_f32 v[50:51], v[36:37], v[40:41] neg_lo:[0,1] neg_hi:[0,1]
	v_pk_add_f32 v[36:37], v[40:41], v[36:37]
	v_add_f32_e32 v26, v24, v25
	v_sub_f32_e32 v38, v25, v24
	v_sub_f32_e32 v41, v24, v33
	v_mul_f32_e32 v24, 0x3f4a47b2, v23
	v_sub_f32_e32 v25, v33, v25
	v_mul_f32_e32 v40, 0xbf08b237, v38
	v_mul_f32_e32 v42, 0x3f5ff5aa, v41
	v_fma_f32 v23, v27, s14, -v24
	v_fma_f32 v38, v41, s13, -v40
	;; [unrolled: 1-line block ×3, first 2 shown]
	v_pk_add_f32 v[42:43], v[22:23], v[0:1] neg_lo:[0,1] neg_hi:[0,1]
	v_pk_add_f32 v[0:1], v[22:23], v[0:1] op_sel_hi:[0,1]
	v_mov_b32_e32 v43, v1
	v_fmac_f32_e32 v40, 0x3eae86e6, v25
	v_add_f32_e32 v25, v1, v21
	v_pk_mul_f32 v[0:1], v[42:43], s[6:7]
	v_add_f32_e32 v33, v33, v26
	v_pk_fma_f32 v[44:45], v[42:43], s[6:7], v[24:25]
	v_pk_fma_f32 v[42:43], v[42:43], s[6:7], v[24:25] neg_lo:[1,0,0] neg_hi:[1,0,0]
	v_fma_f32 v0, v27, s12, -v0
	v_fmac_f32_e32 v38, 0x3ee1c552, v33
	v_mov_b32_e32 v45, v43
	v_add_f32_e32 v0, v0, v43
	v_mov_b32_e32 v22, v43
	v_mul_f32_e32 v26, 0x3ee1c552, v33
	v_pk_add_f32 v[22:23], v[44:45], v[22:23]
	v_pk_add_f32 v[42:43], v[0:1], v[38:39]
	v_pk_add_f32 v[44:45], v[0:1], v[38:39] neg_lo:[0,1] neg_hi:[0,1]
	v_add_f32_e32 v11, v35, v11
	v_sub_f32_e32 v21, v10, v34
	v_add_f32_e32 v0, v31, v17
	v_add_f32_e32 v10, v29, v19
	v_pk_add_f32 v[26:27], v[40:41], v[26:27] op_sel_hi:[1,0]
	v_sub_f32_e32 v16, v16, v30
	v_sub_f32_e32 v17, v18, v28
	v_add_f32_e32 v1, v11, v0
	v_sub_f32_e32 v19, v0, v11
	v_sub_f32_e32 v11, v11, v10
	v_pk_add_f32 v[40:41], v[22:23], v[26:27] neg_lo:[0,1] neg_hi:[0,1]
	v_pk_add_f32 v[22:23], v[26:27], v[22:23]
	v_add_f32_e32 v18, v16, v17
	v_sub_f32_e32 v24, v17, v16
	v_sub_f32_e32 v27, v16, v21
	v_mul_f32_e32 v16, 0x3f4a47b2, v11
	v_sub_f32_e32 v17, v21, v17
	v_mul_f32_e32 v26, 0xbf08b237, v24
	v_mul_f32_e32 v28, 0x3f5ff5aa, v27
	v_fma_f32 v11, v19, s14, -v16
	v_fma_f32 v24, v27, s13, -v26
	;; [unrolled: 1-line block ×3, first 2 shown]
	v_pk_add_f32 v[28:29], v[10:11], v[0:1] neg_lo:[0,1] neg_hi:[0,1]
	v_pk_add_f32 v[0:1], v[10:11], v[0:1] op_sel_hi:[0,1]
	v_fmac_f32_e32 v26, 0x3eae86e6, v17
	v_mov_b32_e32 v29, v1
	v_add_f32_e32 v17, v1, v9
	v_add_f32_e32 v21, v21, v18
	v_pk_mul_f32 v[0:1], v[28:29], s[6:7]
	v_pk_fma_f32 v[30:31], v[28:29], s[6:7], v[16:17]
	v_pk_fma_f32 v[28:29], v[28:29], s[6:7], v[16:17] neg_lo:[1,0,0] neg_hi:[1,0,0]
	v_mul_f32_e32 v18, 0x3ee1c552, v21
	v_mov_b32_e32 v31, v29
	v_fma_f32 v0, v19, s12, -v0
	v_mov_b32_e32 v10, v29
	v_fmac_f32_e32 v24, 0x3ee1c552, v21
	v_add_f32_e32 v0, v0, v29
	v_pk_add_f32 v[10:11], v[30:31], v[10:11]
	v_pk_add_f32 v[18:19], v[26:27], v[18:19] op_sel_hi:[1,0]
	v_pk_add_f32 v[28:29], v[0:1], v[24:25]
	v_pk_add_f32 v[26:27], v[10:11], v[18:19] neg_lo:[0,1] neg_hi:[0,1]
	v_pk_add_f32 v[30:31], v[0:1], v[24:25] neg_lo:[0,1] neg_hi:[0,1]
	v_pk_add_f32 v[0:1], v[18:19], v[10:11]
	s_waitcnt lgkmcnt(0)
	; wave barrier
	s_waitcnt lgkmcnt(0)
	ds_write_b32 v120, v61
	ds_write2_b32 v120, v74, v75 offset0:1 offset1:2
	ds_write2_b32 v120, v106, v104 offset0:3 offset1:4
	;; [unrolled: 1-line block ×3, first 2 shown]
	ds_write_b32 v120, v53 offset:1540
	ds_write2_b32 v130, v68, v69 offset1:1
	ds_write2_b32 v46, v78, v80 offset1:1
	ds_write2_b32 v121, v55, v54 offset1:1
	ds_write_b32 v120, v39 offset:3080
	ds_write2_b32 v129, v50, v51 offset1:1
	ds_write2_b32 v32, v56, v58 offset1:1
	ds_write2_b32 v122, v37, v36 offset1:1
	;; [unrolled: 4-line block ×4, first 2 shown]
	s_waitcnt lgkmcnt(0)
	; wave barrier
	s_waitcnt lgkmcnt(0)
	ds_read2_b32 v[10:11], v119 offset1:55
	ds_read2_b32 v[8:9], v119 offset0:110 offset1:175
	ds_read2_b32 v[50:51], v139 offset0:94 offset1:149
	;; [unrolled: 1-line block ×13, first 2 shown]
	ds_read2_b32 v[30:31], v133 offset1:55
	ds_read2_b32 v[26:27], v134 offset0:94 offset1:149
	ds_read_b32 v52, v119 offset:7440
                                        ; implicit-def: $vgpr22
                                        ; implicit-def: $vgpr18
                                        ; implicit-def: $vgpr132
                                        ; implicit-def: $vgpr17
                                        ; implicit-def: $vgpr21
	s_and_saveexec_b64 s[6:7], s[0:1]
	s_cbranch_execz .LBB0_17
; %bb.16:
	v_add_u32_e32 v0, 0x200, v119
	ds_read2_b32 v[54:55], v0 offset0:37 offset1:212
	v_add_u32_e32 v0, 0x800, v119
	ds_read2_b32 v[22:23], v0 offset0:3 offset1:178
	;; [unrolled: 2-line block ×5, first 2 shown]
	ds_read_b32 v132, v119 offset:7660
	s_waitcnt lgkmcnt(5)
	v_mov_b32_e32 v1, v54
	v_mov_b32_e32 v0, v55
.LBB0_17:
	s_or_b64 exec, exec, s[6:7]
	v_mov_b32_e32 v53, 37
	v_mul_lo_u16_sdwa v54, v118, v53 dst_sel:DWORD dst_unused:UNUSED_PAD src0_sel:BYTE_0 src1_sel:DWORD
	v_sub_u16_sdwa v55, v118, v54 dst_sel:DWORD dst_unused:UNUSED_PAD src0_sel:DWORD src1_sel:BYTE_1
	v_lshrrev_b16_e32 v55, 1, v55
	v_and_b32_e32 v55, 0x7f, v55
	v_add_u16_sdwa v54, v55, v54 dst_sel:DWORD dst_unused:UNUSED_PAD src0_sel:DWORD src1_sel:BYTE_1
	v_lshrrev_b16_e32 v124, 2, v54
	v_mul_lo_u16_e32 v54, 7, v124
	v_add_u32_e32 v86, 55, v118
	v_sub_u16_e32 v125, v118, v54
	v_mov_b32_e32 v62, 10
	v_mul_lo_u16_sdwa v64, v86, v53 dst_sel:DWORD dst_unused:UNUSED_PAD src0_sel:BYTE_0 src1_sel:DWORD
	v_mul_u32_u24_sdwa v54, v125, v62 dst_sel:DWORD dst_unused:UNUSED_PAD src0_sel:BYTE_0 src1_sel:DWORD
	v_sub_u16_sdwa v65, v86, v64 dst_sel:DWORD dst_unused:UNUSED_PAD src0_sel:DWORD src1_sel:BYTE_1
	v_lshlrev_b32_e32 v63, 3, v54
	v_lshrrev_b16_e32 v65, 1, v65
	global_load_dwordx4 v[54:57], v63, s[4:5]
	global_load_dwordx4 v[58:61], v63, s[4:5] offset:16
	global_load_dwordx4 v[134:137], v63, s[4:5] offset:32
	;; [unrolled: 1-line block ×4, first 2 shown]
	v_and_b32_e32 v63, 0x7f, v65
	v_add_u16_sdwa v63, v63, v64 dst_sel:DWORD dst_unused:UNUSED_PAD src0_sel:DWORD src1_sel:BYTE_1
	v_lshrrev_b16_e32 v128, 2, v63
	v_mul_lo_u16_e32 v63, 7, v128
	v_sub_u16_e32 v129, v86, v63
	v_mul_u32_u24_sdwa v63, v129, v62 dst_sel:DWORD dst_unused:UNUSED_PAD src0_sel:BYTE_0 src1_sel:DWORD
	v_lshlrev_b32_e32 v63, 3, v63
	global_load_dwordx4 v[146:149], v63, s[4:5]
	global_load_dwordx4 v[150:153], v63, s[4:5] offset:16
	v_add_u32_e32 v87, 0x6e, v118
	v_mul_lo_u16_sdwa v64, v87, v53 dst_sel:DWORD dst_unused:UNUSED_PAD src0_sel:BYTE_0 src1_sel:DWORD
	v_sub_u16_sdwa v65, v87, v64 dst_sel:DWORD dst_unused:UNUSED_PAD src0_sel:DWORD src1_sel:BYTE_1
	v_lshrrev_b16_e32 v65, 1, v65
	v_and_b32_e32 v65, 0x7f, v65
	v_add_u16_sdwa v64, v65, v64 dst_sel:DWORD dst_unused:UNUSED_PAD src0_sel:DWORD src1_sel:BYTE_1
	v_lshrrev_b16_e32 v130, 2, v64
	v_mul_lo_u16_e32 v64, 7, v130
	v_sub_u16_e32 v131, v87, v64
	v_mul_u32_u24_sdwa v64, v131, v62 dst_sel:DWORD dst_unused:UNUSED_PAD src0_sel:BYTE_0 src1_sel:DWORD
	global_load_dwordx4 v[154:157], v63, s[4:5] offset:32
	v_lshlrev_b32_e32 v64, 3, v64
	global_load_dwordx4 v[158:161], v63, s[4:5] offset:48
	global_load_dwordx4 v[162:165], v63, s[4:5] offset:64
	global_load_dwordx4 v[166:169], v64, s[4:5] offset:48
	global_load_dwordx4 v[170:173], v64, s[4:5] offset:32
	global_load_dwordx4 v[174:177], v64, s[4:5] offset:16
	global_load_dwordx4 v[178:181], v64, s[4:5]
	v_add_u32_e32 v104, 0xa5, v118
	s_mov_b32 s12, 0x3f575c64
	s_mov_b32 s8, 0x3ed4b147
	;; [unrolled: 1-line block ×5, first 2 shown]
	s_waitcnt vmcnt(13)
	v_mul_f32_e32 v121, v13, v55
	s_waitcnt lgkmcnt(14)
	v_mul_f32_e32 v63, v9, v55
	v_fmac_f32_e32 v121, v9, v54
	s_waitcnt vmcnt(11) lgkmcnt(10)
	v_mul_f32_e32 v9, v46, v137
	v_mul_f32_e32 v55, v50, v57
	v_mul_f32_e32 v120, v116, v57
	v_mul_f32_e32 v57, v37, v59
	v_mul_f32_e32 v107, v97, v59
	v_mul_f32_e32 v59, v48, v61
	v_mul_f32_e32 v105, v114, v61
	v_mul_f32_e32 v61, v33, v135
	v_fma_f32 v122, v13, v54, -v63
	s_waitcnt vmcnt(10) lgkmcnt(9)
	v_mul_f32_e32 v13, v29, v139
	v_fma_f32 v79, v112, v136, -v9
	s_waitcnt vmcnt(9) lgkmcnt(6)
	v_mul_f32_e32 v9, v42, v145
	v_mul_f32_e32 v65, v93, v135
	v_fma_f32 v78, v93, v134, -v61
	v_mul_f32_e32 v123, v102, v145
	v_fma_f32 v93, v89, v138, -v13
	s_waitcnt vmcnt(8)
	v_mul_f32_e32 v13, v51, v149
	v_fma_f32 v102, v102, v144, -v9
	v_mul_lo_u16_sdwa v9, v104, v53 dst_sel:DWORD dst_unused:UNUSED_PAD src0_sel:BYTE_0 src1_sel:DWORD
	v_fmac_f32_e32 v123, v42, v144
	v_fma_f32 v42, v117, v148, -v13
	v_sub_u16_sdwa v13, v104, v9 dst_sel:DWORD dst_unused:UNUSED_PAD src0_sel:DWORD src1_sel:BYTE_1
	v_lshrrev_b16_e32 v13, 1, v13
	v_and_b32_e32 v13, 0x7f, v13
	v_mul_f32_e32 v68, v112, v137
	v_mul_f32_e32 v112, v83, v143
	v_add_u16_sdwa v9, v13, v9 dst_sel:DWORD dst_unused:UNUSED_PAD src0_sel:DWORD src1_sel:BYTE_1
	v_fmac_f32_e32 v105, v48, v60
	v_mul_f32_e32 v48, v25, v143
	v_fmac_f32_e32 v112, v25, v142
	v_lshrrev_b16_e32 v25, 2, v9
	v_mul_lo_u16_e32 v9, 7, v25
	v_fma_f32 v108, v97, v58, -v57
	v_fma_f32 v97, v114, v60, -v59
	;; [unrolled: 1-line block ×3, first 2 shown]
	v_sub_u16_e32 v48, v104, v9
	v_fma_f32 v116, v116, v56, -v55
	v_fmac_f32_e32 v120, v50, v56
	global_load_dwordx4 v[54:57], v64, s[4:5] offset:64
	v_mul_u32_u24_sdwa v9, v48, v62 dst_sel:DWORD dst_unused:UNUSED_PAD src0_sel:BYTE_0 src1_sel:DWORD
	v_lshlrev_b32_e32 v9, 3, v9
	v_fmac_f32_e32 v107, v37, v58
	v_mul_f32_e32 v106, v89, v139
	v_mul_f32_e32 v37, v44, v141
	;; [unrolled: 1-line block ×3, first 2 shown]
	v_fmac_f32_e32 v65, v33, v134
	v_fmac_f32_e32 v68, v46, v136
	s_waitcnt lgkmcnt(5)
	v_mul_f32_e32 v33, v40, v147
	global_load_dwordx4 v[134:137], v9, s[4:5]
	v_fmac_f32_e32 v106, v29, v138
	v_fma_f32 v110, v110, v140, -v37
	v_fmac_f32_e32 v109, v44, v140
	global_load_dwordx4 v[138:141], v9, s[4:5] offset:16
	v_fma_f32 v63, v100, v146, -v33
	v_mul_f32_e32 v44, v117, v149
	v_mul_f32_e32 v100, v100, v147
	global_load_dwordx4 v[142:145], v9, s[4:5] offset:32
	v_fmac_f32_e32 v44, v51, v148
	v_fmac_f32_e32 v100, v40, v146
	global_load_dwordx4 v[146:149], v9, s[4:5] offset:48
	s_waitcnt vmcnt(12) lgkmcnt(4)
	v_mul_f32_e32 v13, v38, v151
	v_mul_f32_e32 v29, v49, v153
	;; [unrolled: 1-line block ×4, first 2 shown]
	v_fma_f32 v53, v115, v152, -v29
	v_fma_f32 v80, v98, v150, -v13
	v_fmac_f32_e32 v62, v49, v152
	v_fmac_f32_e32 v81, v38, v150
	global_load_dwordx4 v[150:153], v9, s[4:5] offset:64
	s_waitcnt vmcnt(12)
	v_mul_f32_e32 v13, v47, v157
	v_fma_f32 v38, v113, v156, -v13
	s_waitcnt lgkmcnt(3)
	v_mul_f32_e32 v13, v34, v155
	s_waitcnt vmcnt(10)
	v_mul_f32_e32 v9, v43, v165
	v_fma_f32 v46, v94, v154, -v13
	v_mul_f32_e32 v13, v45, v161
	v_mul_f32_e32 v89, v111, v161
	v_fma_f32 v98, v103, v164, -v9
	s_waitcnt vmcnt(6)
	v_mul_f32_e32 v9, v41, v179
	v_mul_f32_e32 v40, v113, v157
	v_fma_f32 v83, v111, v160, -v13
	s_waitcnt lgkmcnt(2)
	v_mul_f32_e32 v13, v30, v159
	v_fmac_f32_e32 v89, v45, v160
	v_mul_f32_e32 v103, v103, v165
	v_fma_f32 v45, v101, v178, -v9
	v_mul_f32_e32 v64, v101, v179
	v_mul_f32_e32 v9, v36, v181
	v_fmac_f32_e32 v40, v47, v156
	v_mul_f32_e32 v47, v94, v155
	v_fma_f32 v74, v90, v158, -v13
	s_waitcnt lgkmcnt(1)
	v_mul_f32_e32 v13, v26, v163
	v_mul_f32_e32 v94, v84, v163
	v_fmac_f32_e32 v103, v43, v164
	v_fmac_f32_e32 v64, v41, v178
	v_fma_f32 v41, v96, v180, -v9
	v_mul_f32_e32 v43, v96, v181
	v_mul_f32_e32 v9, v39, v175
	;; [unrolled: 1-line block ×3, first 2 shown]
	v_fma_f32 v90, v84, v162, -v13
	v_fmac_f32_e32 v94, v26, v162
	v_fmac_f32_e32 v43, v36, v180
	v_fma_f32 v36, v99, v174, -v9
	v_mul_f32_e32 v9, v32, v177
	v_mul_f32_e32 v13, v95, v171
	;; [unrolled: 1-line block ×3, first 2 shown]
	v_fmac_f32_e32 v75, v30, v158
	v_fma_f32 v33, v92, v176, -v9
	v_mul_f32_e32 v9, v35, v171
	v_fmac_f32_e32 v13, v35, v170
	v_fma_f32 v29, v88, v172, -v26
	v_mul_f32_e32 v30, v88, v173
	v_mul_f32_e32 v26, v31, v167
	v_mul_f32_e32 v35, v82, v169
	v_fmac_f32_e32 v47, v34, v154
	v_mul_f32_e32 v37, v99, v175
	v_mul_f32_e32 v34, v92, v177
	v_fmac_f32_e32 v30, v28, v172
	v_fma_f32 v28, v91, v166, -v26
	v_mul_f32_e32 v26, v24, v169
	v_fmac_f32_e32 v35, v24, v168
	s_waitcnt vmcnt(5)
	v_mul_f32_e32 v24, v27, v55
	v_fmac_f32_e32 v37, v39, v174
	v_fmac_f32_e32 v34, v32, v176
	v_mul_f32_e32 v32, v91, v167
	v_fma_f32 v39, v85, v54, -v24
	s_waitcnt lgkmcnt(0)
	v_mul_f32_e32 v24, v52, v57
	v_fmac_f32_e32 v32, v31, v166
	v_fma_f32 v31, v82, v168, -v26
	v_fma_f32 v82, v126, v56, -v24
	v_mul_f32_e32 v84, v126, v57
	s_waitcnt vmcnt(4)
	v_mul_f32_e32 v24, v0, v135
	v_mul_f32_e32 v58, v6, v135
	;; [unrolled: 1-line block ×3, first 2 shown]
	v_fmac_f32_e32 v84, v52, v56
	v_fma_f32 v56, v6, v134, -v24
	v_fmac_f32_e32 v58, v0, v134
	v_mul_f32_e32 v0, v22, v137
	s_waitcnt vmcnt(3)
	v_mul_f32_e32 v51, v77, v139
	s_waitcnt vmcnt(2)
	v_mul_f32_e32 v6, v20, v145
	v_fmac_f32_e32 v69, v27, v54
	v_fma_f32 v54, v76, v136, -v0
	v_mul_f32_e32 v0, v23, v139
	v_fmac_f32_e32 v51, v23, v138
	v_fma_f32 v23, v70, v144, -v6
	v_mul_f32_e32 v24, v70, v145
	s_waitcnt vmcnt(1)
	v_mul_f32_e32 v6, v21, v147
	v_fmac_f32_e32 v24, v20, v144
	v_fma_f32 v20, v71, v146, -v6
	v_mul_f32_e32 v49, v71, v147
	v_mul_f32_e32 v6, v16, v149
	s_waitcnt vmcnt(0)
	v_mul_f32_e32 v59, v67, v151
	v_mul_f32_e32 v55, v76, v137
	v_fma_f32 v50, v77, v138, -v0
	v_mul_f32_e32 v0, v18, v141
	v_mul_f32_e32 v27, v72, v141
	v_fmac_f32_e32 v49, v21, v146
	v_fma_f32 v21, v66, v148, -v6
	v_mul_f32_e32 v52, v66, v149
	v_mul_f32_e32 v6, v17, v151
	v_fmac_f32_e32 v59, v17, v150
	v_sub_f32_e32 v17, v121, v123
	v_fmac_f32_e32 v55, v22, v136
	v_fma_f32 v26, v72, v140, -v0
	v_fmac_f32_e32 v27, v18, v140
	v_mul_f32_e32 v0, v19, v143
	v_mul_f32_e32 v22, v73, v143
	v_fmac_f32_e32 v52, v16, v148
	v_add_f32_e32 v16, v122, v102
	v_mul_f32_e32 v18, 0xbf0a6770, v17
	v_mul_f32_e32 v66, 0xbf68dda4, v17
	;; [unrolled: 1-line block ×5, first 2 shown]
	v_fma_f32 v0, v73, v142, -v0
	v_fmac_f32_e32 v22, v19, v142
	v_fma_f32 v57, v67, v150, -v6
	v_mul_f32_e32 v6, v132, v153
	v_fma_f32 v19, v16, s12, -v18
	v_fmac_f32_e32 v18, 0x3f575c64, v16
	v_fma_f32 v67, v16, s8, -v66
	v_fmac_f32_e32 v66, 0x3ed4b147, v16
	;; [unrolled: 2-line block ×5, first 2 shown]
	v_fma_f32 v60, v127, v152, -v6
	v_add_f32_e32 v6, v14, v122
	v_add_f32_e32 v19, v14, v19
	v_add_f32_e32 v18, v14, v18
	v_add_f32_e32 v67, v14, v67
	v_add_f32_e32 v66, v14, v66
	v_add_f32_e32 v71, v14, v71
	v_add_f32_e32 v70, v14, v70
	v_add_f32_e32 v73, v14, v73
	v_add_f32_e32 v72, v14, v72
	v_add_f32_e32 v76, v14, v76
	v_add_f32_e32 v14, v14, v17
	v_sub_f32_e32 v17, v120, v112
	v_add_f32_e32 v16, v116, v114
	v_mul_f32_e32 v77, 0xbf68dda4, v17
	v_fma_f32 v85, v16, s8, -v77
	v_fmac_f32_e32 v77, 0x3ed4b147, v16
	v_add_f32_e32 v18, v77, v18
	v_mul_f32_e32 v77, 0xbf4178ce, v17
	v_add_f32_e32 v19, v85, v19
	v_fma_f32 v85, v16, s13, -v77
	v_fmac_f32_e32 v77, 0xbf27a4f4, v16
	v_add_f32_e32 v66, v77, v66
	v_mul_f32_e32 v77, 0x3e903f40, v17
	v_add_f32_e32 v67, v85, v67
	v_fma_f32 v85, v16, s14, -v77
	v_fmac_f32_e32 v77, 0xbf75a155, v16
	v_add_f32_e32 v70, v77, v70
	v_mul_f32_e32 v77, 0x3f7d64f0, v17
	v_add_f32_e32 v71, v85, v71
	v_fma_f32 v85, v16, s9, -v77
	v_fmac_f32_e32 v77, 0xbe11bafb, v16
	v_mul_f32_e32 v17, 0x3f0a6770, v17
	v_add_f32_e32 v72, v77, v72
	v_fma_f32 v77, v16, s12, -v17
	v_fmac_f32_e32 v17, 0x3f575c64, v16
	v_add_f32_e32 v14, v17, v14
	v_sub_f32_e32 v17, v107, v109
	v_add_f32_e32 v76, v77, v76
	v_add_f32_e32 v16, v108, v110
	v_mul_f32_e32 v77, 0xbf7d64f0, v17
	v_add_f32_e32 v73, v85, v73
	v_fma_f32 v85, v16, s9, -v77
	v_fmac_f32_e32 v77, 0xbe11bafb, v16
	v_add_f32_e32 v18, v77, v18
	v_mul_f32_e32 v77, 0x3e903f40, v17
	v_add_f32_e32 v19, v85, v19
	v_fma_f32 v85, v16, s14, -v77
	v_fmac_f32_e32 v77, 0xbf75a155, v16
	v_add_f32_e32 v66, v77, v66
	v_mul_f32_e32 v77, 0x3f68dda4, v17
	v_add_f32_e32 v67, v85, v67
	v_fma_f32 v85, v16, s8, -v77
	v_fmac_f32_e32 v77, 0x3ed4b147, v16
	v_add_f32_e32 v70, v77, v70
	v_mul_f32_e32 v77, 0xbf0a6770, v17
	v_add_f32_e32 v71, v85, v71
	v_fma_f32 v85, v16, s12, -v77
	v_fmac_f32_e32 v77, 0x3f575c64, v16
	v_mul_f32_e32 v17, 0xbf4178ce, v17
	v_add_f32_e32 v72, v77, v72
	v_fma_f32 v77, v16, s13, -v17
	v_fmac_f32_e32 v17, 0xbf27a4f4, v16
	v_add_f32_e32 v14, v17, v14
	v_sub_f32_e32 v17, v105, v106
	v_add_f32_e32 v76, v77, v76
	v_add_f32_e32 v16, v97, v93
	v_mul_f32_e32 v77, 0xbf4178ce, v17
	v_add_f32_e32 v73, v85, v73
	;; [unrolled: 27-line block ×3, first 2 shown]
	v_fma_f32 v85, v16, s14, -v77
	v_fmac_f32_e32 v77, 0xbf75a155, v16
	v_add_f32_e32 v18, v77, v18
	v_mul_f32_e32 v77, 0x3f0a6770, v17
	v_add_f32_e32 v19, v85, v19
	v_fma_f32 v85, v16, s12, -v77
	v_add_f32_e32 v85, v85, v67
	v_fmac_f32_e32 v77, 0x3f575c64, v16
	v_mul_f32_e32 v67, 0xbf4178ce, v17
	v_add_f32_e32 v66, v77, v66
	v_fma_f32 v77, v16, s13, -v67
	v_fmac_f32_e32 v67, 0xbf27a4f4, v16
	v_add_f32_e32 v70, v67, v70
	v_mul_f32_e32 v67, 0x3f68dda4, v17
	v_add_f32_e32 v71, v77, v71
	v_fma_f32 v77, v16, s8, -v67
	v_fmac_f32_e32 v67, 0x3ed4b147, v16
	v_mul_f32_e32 v17, 0xbf7d64f0, v17
	v_add_f32_e32 v72, v67, v72
	v_fma_f32 v67, v16, s9, -v17
	v_add_f32_e32 v76, v67, v76
	v_fmac_f32_e32 v17, 0xbe11bafb, v16
	v_sub_f32_e32 v67, v100, v103
	v_fma_f32 v9, v95, v170, -v9
	v_add_f32_e32 v73, v77, v73
	v_add_f32_e32 v14, v17, v14
	;; [unrolled: 1-line block ×3, first 2 shown]
	v_mul_f32_e32 v77, 0xbf0a6770, v67
	v_mul_f32_e32 v91, 0xbf68dda4, v67
	;; [unrolled: 1-line block ×5, first 2 shown]
	v_fma_f32 v88, v17, s12, -v77
	v_fmac_f32_e32 v77, 0x3f575c64, v17
	v_fma_f32 v92, v17, s8, -v91
	v_fmac_f32_e32 v91, 0x3ed4b147, v17
	;; [unrolled: 2-line block ×5, first 2 shown]
	v_add_f32_e32 v16, v15, v63
	v_add_f32_e32 v88, v15, v88
	;; [unrolled: 1-line block ×11, first 2 shown]
	v_sub_f32_e32 v67, v44, v94
	v_add_f32_e32 v17, v42, v90
	v_mul_f32_e32 v113, 0xbf68dda4, v67
	v_fma_f32 v115, v17, s8, -v113
	v_fmac_f32_e32 v113, 0x3ed4b147, v17
	v_add_f32_e32 v77, v113, v77
	v_mul_f32_e32 v113, 0xbf4178ce, v67
	v_add_f32_e32 v88, v115, v88
	v_fma_f32 v115, v17, s13, -v113
	v_fmac_f32_e32 v113, 0xbf27a4f4, v17
	v_add_f32_e32 v91, v113, v91
	v_mul_f32_e32 v113, 0x3e903f40, v67
	v_add_f32_e32 v92, v115, v92
	v_fma_f32 v115, v17, s14, -v113
	v_fmac_f32_e32 v113, 0xbf75a155, v17
	v_add_f32_e32 v95, v113, v95
	v_mul_f32_e32 v113, 0x3f7d64f0, v67
	v_add_f32_e32 v96, v115, v96
	v_fma_f32 v115, v17, s9, -v113
	v_fmac_f32_e32 v113, 0xbe11bafb, v17
	v_mul_f32_e32 v67, 0x3f0a6770, v67
	v_add_f32_e32 v99, v113, v99
	v_fma_f32 v113, v17, s12, -v67
	v_fmac_f32_e32 v67, 0x3f575c64, v17
	v_add_f32_e32 v15, v67, v15
	v_sub_f32_e32 v67, v81, v89
	v_add_f32_e32 v111, v113, v111
	v_add_f32_e32 v17, v80, v83
	v_mul_f32_e32 v113, 0xbf7d64f0, v67
	v_add_f32_e32 v101, v115, v101
	v_fma_f32 v115, v17, s9, -v113
	v_fmac_f32_e32 v113, 0xbe11bafb, v17
	v_add_f32_e32 v77, v113, v77
	v_mul_f32_e32 v113, 0x3e903f40, v67
	v_add_f32_e32 v88, v115, v88
	v_fma_f32 v115, v17, s14, -v113
	v_fmac_f32_e32 v113, 0xbf75a155, v17
	v_add_f32_e32 v91, v113, v91
	v_mul_f32_e32 v113, 0x3f68dda4, v67
	v_add_f32_e32 v92, v115, v92
	v_fma_f32 v115, v17, s8, -v113
	v_fmac_f32_e32 v113, 0x3ed4b147, v17
	v_add_f32_e32 v95, v113, v95
	v_mul_f32_e32 v113, 0xbf0a6770, v67
	v_add_f32_e32 v96, v115, v96
	v_fma_f32 v115, v17, s12, -v113
	v_fmac_f32_e32 v113, 0x3f575c64, v17
	v_mul_f32_e32 v67, 0xbf4178ce, v67
	v_add_f32_e32 v99, v113, v99
	v_fma_f32 v113, v17, s13, -v67
	v_fmac_f32_e32 v67, 0xbf27a4f4, v17
	v_add_f32_e32 v15, v67, v15
	v_sub_f32_e32 v67, v62, v75
	v_add_f32_e32 v111, v113, v111
	v_add_f32_e32 v17, v53, v74
	v_mul_f32_e32 v113, 0xbf4178ce, v67
	v_add_f32_e32 v101, v115, v101
	v_fma_f32 v115, v17, s13, -v113
	v_fmac_f32_e32 v113, 0xbf27a4f4, v17
	v_add_f32_e32 v77, v113, v77
	v_mul_f32_e32 v113, 0x3f7d64f0, v67
	v_add_f32_e32 v88, v115, v88
	v_fma_f32 v115, v17, s9, -v113
	v_fmac_f32_e32 v113, 0xbe11bafb, v17
	v_add_f32_e32 v91, v113, v91
	v_mul_f32_e32 v113, 0xbf0a6770, v67
	v_add_f32_e32 v92, v115, v92
	v_fma_f32 v115, v17, s12, -v113
	v_fmac_f32_e32 v113, 0x3f575c64, v17
	v_add_f32_e32 v95, v113, v95
	v_mul_f32_e32 v113, 0xbe903f40, v67
	v_add_f32_e32 v96, v115, v96
	v_fma_f32 v115, v17, s14, -v113
	v_fmac_f32_e32 v113, 0xbf75a155, v17
	v_mul_f32_e32 v67, 0x3f68dda4, v67
	v_add_f32_e32 v99, v113, v99
	v_fma_f32 v113, v17, s8, -v67
	v_fmac_f32_e32 v67, 0x3ed4b147, v17
	v_add_f32_e32 v15, v67, v15
	v_sub_f32_e32 v67, v47, v40
	v_add_f32_e32 v111, v113, v111
	v_add_f32_e32 v17, v46, v38
	v_mul_f32_e32 v113, 0xbe903f40, v67
	v_add_f32_e32 v101, v115, v101
	v_fma_f32 v115, v17, s14, -v113
	v_fmac_f32_e32 v113, 0xbf75a155, v17
	v_add_f32_e32 v77, v113, v77
	v_mul_f32_e32 v113, 0x3f0a6770, v67
	v_add_f32_e32 v88, v115, v88
	v_fma_f32 v115, v17, s12, -v113
	v_fmac_f32_e32 v113, 0x3f575c64, v17
	v_add_f32_e32 v91, v113, v91
	v_mul_f32_e32 v113, 0xbf4178ce, v67
	v_add_f32_e32 v92, v115, v92
	;; [unrolled: 5-line block ×3, first 2 shown]
	v_fma_f32 v115, v17, s8, -v113
	v_fmac_f32_e32 v113, 0x3ed4b147, v17
	v_mul_f32_e32 v67, 0xbf7d64f0, v67
	v_add_f32_e32 v99, v113, v99
	v_fma_f32 v113, v17, s9, -v67
	v_mul_f32_e32 v61, v127, v153
	v_add_f32_e32 v111, v113, v111
	v_fmac_f32_e32 v67, 0xbe11bafb, v17
	v_sub_f32_e32 v113, v64, v84
	v_fmac_f32_e32 v61, v132, v152
	v_add_f32_e32 v101, v115, v101
	v_add_f32_e32 v15, v67, v15
	;; [unrolled: 1-line block ×3, first 2 shown]
	v_mul_f32_e32 v115, 0xbf0a6770, v113
	v_mul_f32_e32 v126, 0xbf68dda4, v113
	;; [unrolled: 1-line block ×5, first 2 shown]
	v_fma_f32 v117, v67, s12, -v115
	v_fmac_f32_e32 v115, 0x3f575c64, v67
	v_fma_f32 v127, v67, s8, -v126
	v_fmac_f32_e32 v126, 0x3ed4b147, v67
	;; [unrolled: 2-line block ×5, first 2 shown]
	v_add_f32_e32 v17, v12, v45
	v_add_f32_e32 v117, v12, v117
	;; [unrolled: 1-line block ×11, first 2 shown]
	v_sub_f32_e32 v113, v43, v69
	v_add_f32_e32 v67, v41, v39
	v_mul_f32_e32 v137, 0xbf68dda4, v113
	v_fma_f32 v138, v67, s8, -v137
	v_fmac_f32_e32 v137, 0x3ed4b147, v67
	v_add_f32_e32 v115, v137, v115
	v_mul_f32_e32 v137, 0xbf4178ce, v113
	v_add_f32_e32 v117, v138, v117
	v_fma_f32 v138, v67, s13, -v137
	v_fmac_f32_e32 v137, 0xbf27a4f4, v67
	v_add_f32_e32 v126, v137, v126
	v_mul_f32_e32 v137, 0x3e903f40, v113
	v_add_f32_e32 v127, v138, v127
	v_fma_f32 v138, v67, s14, -v137
	v_fmac_f32_e32 v137, 0xbf75a155, v67
	v_add_f32_e32 v132, v137, v132
	v_mul_f32_e32 v137, 0x3f7d64f0, v113
	v_add_f32_e32 v133, v138, v133
	v_fma_f32 v138, v67, s9, -v137
	v_fmac_f32_e32 v137, 0xbe11bafb, v67
	v_mul_f32_e32 v113, 0x3f0a6770, v113
	v_add_f32_e32 v134, v137, v134
	v_fma_f32 v137, v67, s12, -v113
	v_fmac_f32_e32 v113, 0x3f575c64, v67
	v_add_f32_e32 v12, v113, v12
	v_sub_f32_e32 v113, v37, v35
	v_add_f32_e32 v136, v137, v136
	v_add_f32_e32 v67, v36, v31
	v_mul_f32_e32 v137, 0xbf7d64f0, v113
	v_add_f32_e32 v135, v138, v135
	v_fma_f32 v138, v67, s9, -v137
	v_fmac_f32_e32 v137, 0xbe11bafb, v67
	v_add_f32_e32 v115, v137, v115
	v_mul_f32_e32 v137, 0x3e903f40, v113
	v_add_f32_e32 v117, v138, v117
	v_fma_f32 v138, v67, s14, -v137
	v_fmac_f32_e32 v137, 0xbf75a155, v67
	v_add_f32_e32 v126, v137, v126
	v_mul_f32_e32 v137, 0x3f68dda4, v113
	v_add_f32_e32 v127, v138, v127
	v_fma_f32 v138, v67, s8, -v137
	v_fmac_f32_e32 v137, 0x3ed4b147, v67
	v_add_f32_e32 v132, v137, v132
	v_mul_f32_e32 v137, 0xbf0a6770, v113
	v_add_f32_e32 v133, v138, v133
	v_fma_f32 v138, v67, s12, -v137
	v_fmac_f32_e32 v137, 0x3f575c64, v67
	v_mul_f32_e32 v113, 0xbf4178ce, v113
	v_add_f32_e32 v134, v137, v134
	v_fma_f32 v137, v67, s13, -v113
	v_fmac_f32_e32 v113, 0xbf27a4f4, v67
	v_add_f32_e32 v12, v113, v12
	v_sub_f32_e32 v113, v34, v32
	v_add_f32_e32 v136, v137, v136
	v_add_f32_e32 v67, v33, v28
	v_mul_f32_e32 v137, 0xbf4178ce, v113
	v_add_f32_e32 v135, v138, v135
	;; [unrolled: 27-line block ×3, first 2 shown]
	v_fma_f32 v138, v67, s14, -v137
	v_fmac_f32_e32 v137, 0xbf75a155, v67
	v_add_f32_e32 v115, v137, v115
	v_mul_f32_e32 v137, 0x3f0a6770, v113
	v_add_f32_e32 v6, v6, v116
	v_add_f32_e32 v117, v138, v117
	v_fma_f32 v138, v67, s12, -v137
	v_fmac_f32_e32 v137, 0x3f575c64, v67
	v_add_f32_e32 v6, v6, v108
	v_add_f32_e32 v126, v137, v126
	v_mul_f32_e32 v137, 0xbf4178ce, v113
	v_add_f32_e32 v6, v6, v97
	v_add_f32_e32 v127, v138, v127
	v_fma_f32 v138, v67, s13, -v137
	v_fmac_f32_e32 v137, 0xbf27a4f4, v67
	v_add_f32_e32 v6, v6, v78
	v_add_f32_e32 v16, v16, v42
	;; [unrolled: 1-line block ×4, first 2 shown]
	v_mul_f32_e32 v137, 0x3f68dda4, v113
	v_add_f32_e32 v6, v6, v79
	v_add_f32_e32 v16, v16, v80
	v_add_f32_e32 v17, v17, v36
	v_add_f32_e32 v133, v138, v133
	v_fma_f32 v138, v67, s8, -v137
	v_fmac_f32_e32 v137, 0x3ed4b147, v67
	v_mul_f32_e32 v113, 0xbf7d64f0, v113
	v_add_f32_e32 v6, v6, v93
	v_add_f32_e32 v16, v16, v53
	;; [unrolled: 1-line block ×4, first 2 shown]
	v_fma_f32 v137, v67, s9, -v113
	v_fmac_f32_e32 v113, 0xbe11bafb, v67
	v_add_f32_e32 v6, v6, v110
	v_add_f32_e32 v16, v16, v46
	;; [unrolled: 1-line block ×4, first 2 shown]
	v_mov_b32_e32 v12, 2
	v_add_f32_e32 v6, v6, v114
	v_add_f32_e32 v16, v16, v38
	;; [unrolled: 1-line block ×3, first 2 shown]
	v_mul_u32_u24_e32 v67, 0x134, v124
	v_lshlrev_b32_sdwa v124, v12, v125 dst_sel:DWORD dst_unused:UNUSED_PAD src0_sel:DWORD src1_sel:BYTE_0
	v_add_f32_e32 v6, v6, v102
	v_add_f32_e32 v16, v16, v74
	;; [unrolled: 1-line block ×3, first 2 shown]
	v_add3_u32 v67, 0, v67, v124
	v_add_f32_e32 v16, v16, v83
	v_add_f32_e32 v17, v17, v31
	s_waitcnt lgkmcnt(0)
	; wave barrier
	ds_write2_b32 v67, v6, v19 offset1:7
	ds_write2_b32 v67, v85, v71 offset0:14 offset1:21
	ds_write2_b32 v67, v73, v76 offset0:28 offset1:35
	;; [unrolled: 1-line block ×4, first 2 shown]
	ds_write_b32 v67, v18 offset:280
	v_mul_u32_u24_e32 v6, 0x134, v128
	v_lshlrev_b32_sdwa v14, v12, v129 dst_sel:DWORD dst_unused:UNUSED_PAD src0_sel:DWORD src1_sel:BYTE_0
	v_add_f32_e32 v16, v16, v90
	v_add_f32_e32 v17, v17, v39
	v_add3_u32 v73, 0, v6, v14
	v_mul_u32_u24_e32 v6, 0x134, v130
	v_lshlrev_b32_sdwa v14, v12, v131 dst_sel:DWORD dst_unused:UNUSED_PAD src0_sel:DWORD src1_sel:BYTE_0
	v_add_f32_e32 v16, v16, v98
	v_add_f32_e32 v17, v17, v82
	v_add3_u32 v85, 0, v6, v14
	v_add_f32_e32 v135, v138, v135
	v_add_f32_e32 v136, v137, v136
	ds_write2_b32 v73, v16, v88 offset1:7
	ds_write2_b32 v73, v92, v96 offset0:14 offset1:21
	ds_write2_b32 v73, v101, v111 offset0:28 offset1:35
	;; [unrolled: 1-line block ×4, first 2 shown]
	ds_write_b32 v73, v77 offset:280
	ds_write2_b32 v85, v17, v117 offset1:7
	ds_write2_b32 v85, v127, v133 offset0:14 offset1:21
	ds_write2_b32 v85, v135, v136 offset0:28 offset1:35
	;; [unrolled: 1-line block ×4, first 2 shown]
	ds_write_b32 v85, v115 offset:280
	s_and_saveexec_b64 s[6:7], s[0:1]
	s_cbranch_execz .LBB0_19
; %bb.18:
	v_sub_f32_e32 v14, v58, v61
	v_add_f32_e32 v6, v56, v60
	v_mul_f32_e32 v15, 0xbe903f40, v14
	v_sub_f32_e32 v18, v55, v59
	v_fmamk_f32 v16, v6, 0xbf75a155, v15
	v_add_f32_e32 v17, v54, v57
	v_mul_f32_e32 v19, 0x3f0a6770, v18
	v_add_f32_e32 v16, v7, v16
	v_fmamk_f32 v66, v17, 0x3f575c64, v19
	v_sub_f32_e32 v70, v51, v52
	v_add_f32_e32 v16, v66, v16
	v_add_f32_e32 v66, v50, v21
	v_mul_f32_e32 v71, 0xbf4178ce, v70
	v_fmamk_f32 v72, v66, 0xbf27a4f4, v71
	v_sub_f32_e32 v76, v27, v49
	v_fma_f32 v15, v6, s14, -v15
	v_add_f32_e32 v16, v72, v16
	v_add_f32_e32 v72, v26, v20
	v_mul_f32_e32 v77, 0x3f68dda4, v76
	v_add_f32_e32 v15, v7, v15
	v_fma_f32 v19, v17, s12, -v19
	v_fmamk_f32 v88, v72, 0x3ed4b147, v77
	v_sub_f32_e32 v91, v22, v24
	v_add_f32_e32 v15, v19, v15
	v_fma_f32 v19, v66, s13, -v71
	v_add_f32_e32 v16, v88, v16
	v_add_f32_e32 v88, v0, v23
	v_mul_f32_e32 v92, 0xbf7d64f0, v91
	v_add_f32_e32 v15, v19, v15
	v_fma_f32 v19, v72, s8, -v77
	v_add_f32_e32 v15, v19, v15
	v_fma_f32 v19, v88, s9, -v92
	v_add_f32_e32 v15, v19, v15
	v_mul_f32_e32 v19, 0xbf4178ce, v14
	v_fmamk_f32 v71, v6, 0xbf27a4f4, v19
	v_mul_f32_e32 v77, 0x3f7d64f0, v18
	v_fmamk_f32 v95, v88, 0xbe11bafb, v92
	v_add_f32_e32 v71, v7, v71
	v_fmamk_f32 v92, v17, 0xbe11bafb, v77
	v_add_f32_e32 v71, v92, v71
	v_mul_f32_e32 v92, 0xbf0a6770, v70
	v_add_f32_e32 v16, v95, v16
	v_fmamk_f32 v95, v66, 0x3f575c64, v92
	v_fma_f32 v19, v6, s13, -v19
	v_add_f32_e32 v71, v95, v71
	v_mul_f32_e32 v95, 0xbe903f40, v76
	v_add_f32_e32 v19, v7, v19
	v_fma_f32 v77, v17, s9, -v77
	v_fmamk_f32 v96, v72, 0xbf75a155, v95
	v_add_f32_e32 v19, v77, v19
	v_fma_f32 v77, v66, s12, -v92
	v_add_f32_e32 v71, v96, v71
	v_mul_f32_e32 v96, 0x3f68dda4, v91
	v_add_f32_e32 v19, v77, v19
	v_fma_f32 v77, v72, s14, -v95
	v_add_f32_e32 v19, v77, v19
	v_fma_f32 v77, v88, s8, -v96
	v_add_f32_e32 v19, v77, v19
	v_mul_f32_e32 v77, 0xbf7d64f0, v14
	v_fmamk_f32 v92, v6, 0xbe11bafb, v77
	v_mul_f32_e32 v95, 0x3e903f40, v18
	v_fmamk_f32 v99, v88, 0x3ed4b147, v96
	v_add_f32_e32 v92, v7, v92
	v_fmamk_f32 v96, v17, 0xbf75a155, v95
	v_add_f32_e32 v92, v96, v92
	v_mul_f32_e32 v96, 0x3f68dda4, v70
	v_add_f32_e32 v71, v99, v71
	v_fmamk_f32 v99, v66, 0x3ed4b147, v96
	v_fma_f32 v77, v6, s9, -v77
	v_add_f32_e32 v92, v99, v92
	v_mul_f32_e32 v99, 0xbf0a6770, v76
	v_add_f32_e32 v77, v7, v77
	v_fma_f32 v95, v17, s14, -v95
	v_fmamk_f32 v101, v72, 0x3f575c64, v99
	v_add_f32_e32 v77, v95, v77
	v_fma_f32 v95, v66, s8, -v96
	;; [unrolled: 25-line block ×3, first 2 shown]
	v_add_f32_e32 v96, v113, v96
	v_mul_f32_e32 v113, 0x3f0a6770, v91
	v_add_f32_e32 v95, v99, v95
	v_fma_f32 v99, v72, s9, -v111
	v_add_f32_e32 v95, v99, v95
	v_fma_f32 v99, v88, s12, -v113
	v_mul_f32_e32 v14, 0xbf0a6770, v14
	v_add_f32_e32 v95, v99, v95
	v_fmamk_f32 v99, v6, 0x3f575c64, v14
	v_fma_f32 v6, v6, s12, -v14
	v_add_f32_e32 v99, v7, v99
	v_add_f32_e32 v6, v7, v6
	;; [unrolled: 1-line block ×5, first 2 shown]
	v_mul_f32_e32 v18, 0xbf68dda4, v18
	v_add_f32_e32 v7, v7, v26
	v_mul_f32_e32 v70, 0xbf7d64f0, v70
	v_fma_f32 v14, v17, s8, -v18
	v_add_f32_e32 v7, v7, v0
	v_mul_f32_e32 v76, 0xbf4178ce, v76
	v_add_f32_e32 v6, v14, v6
	v_fma_f32 v14, v66, s9, -v70
	v_add_f32_e32 v7, v7, v23
	v_fmamk_f32 v101, v17, 0x3ed4b147, v18
	v_mul_f32_e32 v91, 0xbe903f40, v91
	v_add_f32_e32 v6, v14, v6
	v_fma_f32 v14, v72, s13, -v76
	v_add_f32_e32 v7, v7, v20
	v_add_f32_e32 v99, v101, v99
	v_fmamk_f32 v101, v66, 0xbe11bafb, v70
	v_add_f32_e32 v6, v14, v6
	v_fma_f32 v14, v88, s14, -v91
	v_add_f32_e32 v7, v7, v21
	v_add_f32_e32 v99, v101, v99
	v_fmamk_f32 v101, v72, 0xbf27a4f4, v76
	v_add_f32_e32 v6, v14, v6
	v_add_f32_e32 v7, v7, v57
	v_mul_u32_u24_e32 v14, 0x134, v25
	v_lshlrev_b32_sdwa v12, v12, v48 dst_sel:DWORD dst_unused:UNUSED_PAD src0_sel:DWORD src1_sel:BYTE_0
	v_fmamk_f32 v115, v88, 0x3f575c64, v113
	v_add_f32_e32 v99, v101, v99
	v_fmamk_f32 v101, v88, 0xbf75a155, v91
	v_add_f32_e32 v7, v7, v60
	v_add3_u32 v12, 0, v14, v12
	v_add_f32_e32 v96, v115, v96
	v_add_f32_e32 v99, v101, v99
	ds_write2_b32 v12, v7, v6 offset1:7
	ds_write2_b32 v12, v95, v77 offset0:14 offset1:21
	ds_write2_b32 v12, v19, v15 offset0:28 offset1:35
	;; [unrolled: 1-line block ×4, first 2 shown]
	ds_write_b32 v12, v99 offset:280
.LBB0_19:
	s_or_b64 exec, exec, s[6:7]
	v_add_f32_e32 v6, v10, v121
	v_add_f32_e32 v6, v6, v120
	;; [unrolled: 1-line block ×9, first 2 shown]
	v_sub_f32_e32 v7, v122, v102
	v_add_f32_e32 v88, v6, v123
	v_add_f32_e32 v6, v121, v123
	v_mul_f32_e32 v12, 0xbf0a6770, v7
	v_mul_f32_e32 v15, 0xbf68dda4, v7
	;; [unrolled: 1-line block ×5, first 2 shown]
	v_fmamk_f32 v14, v6, 0x3f575c64, v12
	v_fma_f32 v12, v6, s12, -v12
	v_fmamk_f32 v16, v6, 0x3ed4b147, v15
	v_fma_f32 v15, v6, s8, -v15
	;; [unrolled: 2-line block ×5, first 2 shown]
	v_add_f32_e32 v14, v10, v14
	v_add_f32_e32 v12, v10, v12
	;; [unrolled: 1-line block ×10, first 2 shown]
	v_sub_f32_e32 v10, v116, v114
	v_add_f32_e32 v7, v120, v112
	v_mul_f32_e32 v71, 0xbf68dda4, v10
	v_fmamk_f32 v72, v7, 0x3ed4b147, v71
	v_fma_f32 v71, v7, s8, -v71
	v_add_f32_e32 v12, v71, v12
	v_mul_f32_e32 v71, 0xbf4178ce, v10
	v_add_f32_e32 v14, v72, v14
	v_fmamk_f32 v72, v7, 0xbf27a4f4, v71
	v_fma_f32 v71, v7, s13, -v71
	v_add_f32_e32 v15, v71, v15
	v_mul_f32_e32 v71, 0x3e903f40, v10
	v_add_f32_e32 v16, v72, v16
	;; [unrolled: 5-line block ×3, first 2 shown]
	v_fmamk_f32 v72, v7, 0xbe11bafb, v71
	v_fma_f32 v71, v7, s9, -v71
	v_mul_f32_e32 v10, 0x3f0a6770, v10
	v_add_f32_e32 v19, v71, v19
	v_fmamk_f32 v71, v7, 0x3f575c64, v10
	v_fma_f32 v7, v7, s12, -v10
	v_sub_f32_e32 v10, v108, v110
	v_add_f32_e32 v70, v71, v70
	v_add_f32_e32 v6, v7, v6
	;; [unrolled: 1-line block ×3, first 2 shown]
	v_mul_f32_e32 v71, 0xbf7d64f0, v10
	v_add_f32_e32 v66, v72, v66
	v_fmamk_f32 v72, v7, 0xbe11bafb, v71
	v_fma_f32 v71, v7, s9, -v71
	v_add_f32_e32 v12, v71, v12
	v_mul_f32_e32 v71, 0x3e903f40, v10
	v_add_f32_e32 v14, v72, v14
	v_fmamk_f32 v72, v7, 0xbf75a155, v71
	v_fma_f32 v71, v7, s14, -v71
	v_add_f32_e32 v15, v71, v15
	;; [unrolled: 5-line block ×3, first 2 shown]
	v_mul_f32_e32 v71, 0xbf0a6770, v10
	v_add_f32_e32 v18, v72, v18
	v_fmamk_f32 v72, v7, 0x3f575c64, v71
	v_fma_f32 v71, v7, s12, -v71
	v_mul_f32_e32 v10, 0xbf4178ce, v10
	v_add_f32_e32 v19, v71, v19
	v_fmamk_f32 v71, v7, 0xbf27a4f4, v10
	v_fma_f32 v7, v7, s13, -v10
	v_sub_f32_e32 v10, v97, v93
	v_add_f32_e32 v70, v71, v70
	v_add_f32_e32 v6, v7, v6
	;; [unrolled: 1-line block ×3, first 2 shown]
	v_mul_f32_e32 v71, 0xbf4178ce, v10
	v_add_f32_e32 v66, v72, v66
	v_fmamk_f32 v72, v7, 0xbf27a4f4, v71
	v_fma_f32 v71, v7, s13, -v71
	v_add_f32_e32 v12, v71, v12
	v_mul_f32_e32 v71, 0x3f7d64f0, v10
	v_add_f32_e32 v14, v72, v14
	v_fmamk_f32 v72, v7, 0xbe11bafb, v71
	v_fma_f32 v71, v7, s9, -v71
	v_add_f32_e32 v15, v71, v15
	v_mul_f32_e32 v71, 0xbf0a6770, v10
	v_add_f32_e32 v16, v72, v16
	v_fmamk_f32 v72, v7, 0x3f575c64, v71
	v_fma_f32 v71, v7, s12, -v71
	v_add_f32_e32 v17, v71, v17
	v_mul_f32_e32 v71, 0xbe903f40, v10
	v_add_f32_e32 v18, v72, v18
	v_fmamk_f32 v72, v7, 0xbf75a155, v71
	v_fma_f32 v71, v7, s14, -v71
	v_mul_f32_e32 v10, 0x3f68dda4, v10
	v_add_f32_e32 v19, v71, v19
	v_fmamk_f32 v71, v7, 0x3ed4b147, v10
	v_fma_f32 v7, v7, s8, -v10
	v_sub_f32_e32 v10, v78, v79
	v_add_f32_e32 v6, v7, v6
	v_add_f32_e32 v7, v65, v68
	v_mul_f32_e32 v65, 0xbe903f40, v10
	v_fmamk_f32 v68, v7, 0xbf75a155, v65
	v_add_f32_e32 v78, v68, v14
	v_fma_f32 v14, v7, s14, -v65
	v_add_f32_e32 v79, v14, v12
	v_mul_f32_e32 v12, 0x3f0a6770, v10
	v_fmamk_f32 v14, v7, 0x3f575c64, v12
	v_fma_f32 v12, v7, s12, -v12
	v_add_f32_e32 v92, v12, v15
	v_mul_f32_e32 v12, 0xbf4178ce, v10
	v_add_f32_e32 v91, v14, v16
	v_fmamk_f32 v14, v7, 0xbf27a4f4, v12
	v_fma_f32 v12, v7, s13, -v12
	v_add_f32_e32 v95, v12, v17
	v_mul_f32_e32 v12, 0x3f68dda4, v10
	v_add_f32_e32 v93, v14, v18
	v_fmamk_f32 v14, v7, 0x3ed4b147, v12
	v_fma_f32 v12, v7, s8, -v12
	v_mul_f32_e32 v10, 0xbf7d64f0, v10
	v_add_f32_e32 v97, v12, v19
	v_fmamk_f32 v12, v7, 0xbe11bafb, v10
	v_fma_f32 v7, v7, s9, -v10
	v_add_f32_e32 v101, v7, v6
	v_add_f32_e32 v6, v11, v100
	;; [unrolled: 1-line block ×11, first 2 shown]
	v_sub_f32_e32 v7, v63, v98
	v_add_f32_e32 v70, v71, v70
	v_add_f32_e32 v96, v14, v66
	;; [unrolled: 1-line block ×4, first 2 shown]
	v_mul_f32_e32 v10, 0xbf0a6770, v7
	v_mul_f32_e32 v14, 0xbf68dda4, v7
	;; [unrolled: 1-line block ×5, first 2 shown]
	v_add_f32_e32 v99, v12, v70
	v_fmamk_f32 v12, v6, 0x3f575c64, v10
	v_fma_f32 v10, v6, s12, -v10
	v_fmamk_f32 v15, v6, 0x3ed4b147, v14
	v_fma_f32 v14, v6, s8, -v14
	;; [unrolled: 2-line block ×5, first 2 shown]
	v_add_f32_e32 v12, v11, v12
	v_add_f32_e32 v10, v11, v10
	;; [unrolled: 1-line block ×10, first 2 shown]
	v_sub_f32_e32 v11, v42, v90
	v_add_f32_e32 v7, v44, v94
	v_mul_f32_e32 v42, 0xbf68dda4, v11
	v_fmamk_f32 v44, v7, 0x3ed4b147, v42
	v_fma_f32 v42, v7, s8, -v42
	v_add_f32_e32 v10, v42, v10
	v_mul_f32_e32 v42, 0xbf4178ce, v11
	v_add_f32_e32 v12, v44, v12
	v_fmamk_f32 v44, v7, 0xbf27a4f4, v42
	v_fma_f32 v42, v7, s13, -v42
	v_add_f32_e32 v14, v42, v14
	v_mul_f32_e32 v42, 0x3e903f40, v11
	v_add_f32_e32 v15, v44, v15
	;; [unrolled: 5-line block ×3, first 2 shown]
	v_fmamk_f32 v44, v7, 0xbe11bafb, v42
	v_fma_f32 v42, v7, s9, -v42
	v_mul_f32_e32 v11, 0x3f0a6770, v11
	v_add_f32_e32 v18, v42, v18
	v_fmamk_f32 v42, v7, 0x3f575c64, v11
	v_fma_f32 v7, v7, s12, -v11
	v_sub_f32_e32 v11, v80, v83
	v_add_f32_e32 v19, v44, v19
	v_add_f32_e32 v6, v7, v6
	;; [unrolled: 1-line block ×3, first 2 shown]
	v_mul_f32_e32 v44, 0xbf7d64f0, v11
	v_add_f32_e32 v42, v42, v63
	v_fmamk_f32 v63, v7, 0xbe11bafb, v44
	v_fma_f32 v44, v7, s9, -v44
	v_add_f32_e32 v10, v44, v10
	v_mul_f32_e32 v44, 0x3e903f40, v11
	v_add_f32_e32 v12, v63, v12
	v_fmamk_f32 v63, v7, 0xbf75a155, v44
	v_fma_f32 v44, v7, s14, -v44
	v_add_f32_e32 v14, v44, v14
	;; [unrolled: 5-line block ×3, first 2 shown]
	v_mul_f32_e32 v44, 0xbf0a6770, v11
	v_add_f32_e32 v17, v63, v17
	v_fmamk_f32 v63, v7, 0x3f575c64, v44
	v_fma_f32 v44, v7, s12, -v44
	v_mul_f32_e32 v11, 0xbf4178ce, v11
	v_add_f32_e32 v18, v44, v18
	v_fmamk_f32 v44, v7, 0xbf27a4f4, v11
	v_fma_f32 v7, v7, s13, -v11
	v_sub_f32_e32 v11, v53, v74
	v_add_f32_e32 v42, v44, v42
	v_add_f32_e32 v6, v7, v6
	;; [unrolled: 1-line block ×3, first 2 shown]
	v_mul_f32_e32 v44, 0xbf4178ce, v11
	v_fmamk_f32 v53, v7, 0xbf27a4f4, v44
	v_fma_f32 v44, v7, s13, -v44
	v_add_f32_e32 v10, v44, v10
	v_mul_f32_e32 v44, 0x3f7d64f0, v11
	v_add_f32_e32 v12, v53, v12
	v_fmamk_f32 v53, v7, 0xbe11bafb, v44
	v_fma_f32 v44, v7, s9, -v44
	v_add_f32_e32 v14, v44, v14
	v_mul_f32_e32 v44, 0xbf0a6770, v11
	v_add_f32_e32 v15, v53, v15
	;; [unrolled: 5-line block ×3, first 2 shown]
	v_fmamk_f32 v53, v7, 0xbf75a155, v44
	v_fma_f32 v44, v7, s14, -v44
	v_mul_f32_e32 v11, 0x3f68dda4, v11
	v_add_f32_e32 v18, v44, v18
	v_fmamk_f32 v44, v7, 0x3ed4b147, v11
	v_fma_f32 v7, v7, s8, -v11
	v_sub_f32_e32 v11, v46, v38
	v_add_f32_e32 v6, v7, v6
	v_add_f32_e32 v7, v47, v40
	v_mul_f32_e32 v38, 0xbe903f40, v11
	v_fmamk_f32 v40, v7, 0xbf75a155, v38
	v_add_f32_e32 v19, v63, v19
	v_add_f32_e32 v63, v40, v12
	v_fma_f32 v12, v7, s14, -v38
	v_add_f32_e32 v80, v12, v10
	v_mul_f32_e32 v10, 0x3f0a6770, v11
	v_fmamk_f32 v12, v7, 0x3f575c64, v10
	v_fma_f32 v10, v7, s12, -v10
	v_add_f32_e32 v83, v10, v14
	v_mul_f32_e32 v10, 0xbf4178ce, v11
	v_add_f32_e32 v81, v12, v15
	v_fmamk_f32 v12, v7, 0xbf27a4f4, v10
	v_fma_f32 v10, v7, s13, -v10
	v_add_f32_e32 v90, v10, v16
	v_mul_f32_e32 v10, 0x3f68dda4, v11
	v_add_f32_e32 v89, v12, v17
	v_fmamk_f32 v12, v7, 0x3ed4b147, v10
	v_fma_f32 v10, v7, s8, -v10
	v_add_f32_e32 v98, v10, v18
	v_mul_f32_e32 v10, 0xbf7d64f0, v11
	v_fmamk_f32 v11, v7, 0xbe11bafb, v10
	v_fma_f32 v7, v7, s9, -v10
	v_add_f32_e32 v103, v7, v6
	v_add_f32_e32 v6, v8, v64
	;; [unrolled: 1-line block ×11, first 2 shown]
	v_sub_f32_e32 v7, v45, v82
	v_add_f32_e32 v42, v44, v42
	v_add_f32_e32 v94, v12, v19
	;; [unrolled: 1-line block ×4, first 2 shown]
	v_mul_f32_e32 v10, 0xbf0a6770, v7
	v_mul_f32_e32 v12, 0xbf68dda4, v7
	;; [unrolled: 1-line block ×5, first 2 shown]
	v_add_f32_e32 v100, v11, v42
	v_fmamk_f32 v11, v6, 0x3f575c64, v10
	v_fma_f32 v10, v6, s12, -v10
	v_fmamk_f32 v14, v6, 0x3ed4b147, v12
	v_fma_f32 v12, v6, s8, -v12
	;; [unrolled: 2-line block ×5, first 2 shown]
	v_add_f32_e32 v11, v8, v11
	v_add_f32_e32 v10, v8, v10
	;; [unrolled: 1-line block ×10, first 2 shown]
	v_sub_f32_e32 v8, v41, v39
	v_add_f32_e32 v7, v43, v69
	v_mul_f32_e32 v38, 0xbf68dda4, v8
	v_fmamk_f32 v39, v7, 0x3ed4b147, v38
	v_fma_f32 v38, v7, s8, -v38
	v_add_f32_e32 v10, v38, v10
	v_mul_f32_e32 v38, 0xbf4178ce, v8
	v_add_f32_e32 v11, v39, v11
	v_fmamk_f32 v39, v7, 0xbf27a4f4, v38
	v_fma_f32 v38, v7, s13, -v38
	v_add_f32_e32 v12, v38, v12
	v_mul_f32_e32 v38, 0x3e903f40, v8
	v_add_f32_e32 v14, v39, v14
	;; [unrolled: 5-line block ×3, first 2 shown]
	v_fmamk_f32 v39, v7, 0xbe11bafb, v38
	v_fma_f32 v38, v7, s9, -v38
	v_mul_f32_e32 v8, 0x3f0a6770, v8
	v_add_f32_e32 v17, v38, v17
	v_fmamk_f32 v38, v7, 0x3f575c64, v8
	v_fma_f32 v7, v7, s12, -v8
	v_sub_f32_e32 v8, v36, v31
	v_add_f32_e32 v6, v7, v6
	v_add_f32_e32 v7, v37, v35
	v_mul_f32_e32 v31, 0xbf7d64f0, v8
	v_fmamk_f32 v35, v7, 0xbe11bafb, v31
	v_fma_f32 v31, v7, s9, -v31
	v_add_f32_e32 v10, v31, v10
	v_mul_f32_e32 v31, 0x3e903f40, v8
	v_add_f32_e32 v11, v35, v11
	v_fmamk_f32 v35, v7, 0xbf75a155, v31
	v_fma_f32 v31, v7, s14, -v31
	v_add_f32_e32 v12, v31, v12
	v_mul_f32_e32 v31, 0x3f68dda4, v8
	v_add_f32_e32 v14, v35, v14
	;; [unrolled: 5-line block ×3, first 2 shown]
	v_fmamk_f32 v35, v7, 0x3f575c64, v31
	v_fma_f32 v31, v7, s12, -v31
	v_mul_f32_e32 v8, 0xbf4178ce, v8
	v_add_f32_e32 v17, v31, v17
	v_fmamk_f32 v31, v7, 0xbf27a4f4, v8
	v_fma_f32 v7, v7, s13, -v8
	v_sub_f32_e32 v8, v33, v28
	v_add_f32_e32 v19, v38, v19
	v_add_f32_e32 v6, v7, v6
	;; [unrolled: 1-line block ×3, first 2 shown]
	v_mul_f32_e32 v28, 0xbf4178ce, v8
	v_add_f32_e32 v19, v31, v19
	v_fmamk_f32 v31, v7, 0xbf27a4f4, v28
	v_fma_f32 v28, v7, s13, -v28
	v_add_f32_e32 v10, v28, v10
	v_mul_f32_e32 v28, 0x3f7d64f0, v8
	v_add_f32_e32 v11, v31, v11
	v_fmamk_f32 v31, v7, 0xbe11bafb, v28
	v_fma_f32 v28, v7, s9, -v28
	v_add_f32_e32 v12, v28, v12
	;; [unrolled: 5-line block ×3, first 2 shown]
	v_mul_f32_e32 v28, 0xbe903f40, v8
	v_add_f32_e32 v16, v31, v16
	v_fmamk_f32 v31, v7, 0xbf75a155, v28
	v_fma_f32 v28, v7, s14, -v28
	v_mul_f32_e32 v8, 0x3f68dda4, v8
	v_add_f32_e32 v17, v28, v17
	v_fmamk_f32 v28, v7, 0x3ed4b147, v8
	v_fma_f32 v7, v7, s8, -v8
	v_sub_f32_e32 v8, v9, v29
	v_add_f32_e32 v6, v7, v6
	v_add_f32_e32 v7, v13, v30
	v_mul_f32_e32 v9, 0xbe903f40, v8
	v_fmamk_f32 v13, v7, 0xbf75a155, v9
	v_fma_f32 v9, v7, s14, -v9
	v_add_f32_e32 v84, v9, v10
	v_mul_f32_e32 v9, 0x3f0a6770, v8
	v_fmamk_f32 v10, v7, 0x3f575c64, v9
	v_fma_f32 v9, v7, s12, -v9
	v_add_f32_e32 v107, v9, v12
	v_mul_f32_e32 v9, 0xbf4178ce, v8
	v_add_f32_e32 v106, v10, v14
	v_fmamk_f32 v10, v7, 0xbf27a4f4, v9
	v_fma_f32 v9, v7, s13, -v9
	v_add_f32_e32 v18, v39, v18
	v_add_f32_e32 v109, v9, v15
	v_mul_f32_e32 v9, 0x3f68dda4, v8
	v_add_f32_e32 v18, v35, v18
	v_add_f32_e32 v108, v10, v16
	v_fmamk_f32 v10, v7, 0x3ed4b147, v9
	v_fma_f32 v9, v7, s8, -v9
	v_mul_f32_e32 v8, 0xbf7d64f0, v8
	v_add_f32_e32 v18, v31, v18
	v_add_f32_e32 v111, v9, v17
	v_fmamk_f32 v9, v7, 0xbe11bafb, v8
	v_fma_f32 v7, v7, s9, -v8
	v_add_u32_e32 v66, 0x400, v119
	v_add_u32_e32 v72, 0xa00, v119
	v_add_u32_e32 v64, 0x1000, v119
	v_add_u32_e32 v77, 0x1600, v119
	v_add_u32_e32 v68, 0xc00, v119
	v_add_u32_e32 v65, 0x1800, v119
	v_add_u32_e32 v76, 0x600, v119
	v_add_u32_e32 v75, 0x1200, v119
	v_lshl_add_u32 v53, v118, 2, 0
	v_add_f32_e32 v19, v28, v19
	v_add_f32_e32 v82, v13, v11
	;; [unrolled: 1-line block ×4, first 2 shown]
	s_waitcnt lgkmcnt(0)
	; wave barrier
	s_waitcnt lgkmcnt(0)
	ds_read2_b32 v[6:7], v119 offset1:55
	ds_read2_b32 v[46:47], v66 offset0:129 offset1:184
	ds_read2_b32 v[14:15], v72 offset0:75 offset1:130
	;; [unrolled: 1-line block ×6, first 2 shown]
	ds_read_b32 v62, v119 offset:440
	ds_read2_b32 v[38:39], v76 offset0:111 offset1:166
	ds_read2_b32 v[36:37], v75 offset0:113 offset1:168
	;; [unrolled: 1-line block ×5, first 2 shown]
	v_add_u32_e32 v74, 0x800, v119
	v_add_u32_e32 v71, 0x1400, v119
	;; [unrolled: 1-line block ×4, first 2 shown]
	v_add_f32_e32 v112, v9, v19
	ds_read2_b32 v[30:31], v74 offset0:93 offset1:148
	ds_read2_b32 v[28:29], v71 offset0:95 offset1:150
	;; [unrolled: 1-line block ×5, first 2 shown]
	s_waitcnt lgkmcnt(0)
	; wave barrier
	s_waitcnt lgkmcnt(0)
	ds_write2_b32 v67, v88, v78 offset1:7
	ds_write2_b32 v67, v91, v93 offset0:14 offset1:21
	ds_write2_b32 v67, v96, v99 offset0:28 offset1:35
	ds_write2_b32 v67, v101, v97 offset0:42 offset1:49
	ds_write2_b32 v67, v95, v92 offset0:56 offset1:63
	ds_write_b32 v67, v79 offset:280
	ds_write2_b32 v73, v102, v63 offset1:7
	ds_write2_b32 v73, v81, v89 offset0:14 offset1:21
	ds_write2_b32 v73, v94, v100 offset0:28 offset1:35
	ds_write2_b32 v73, v103, v98 offset0:42 offset1:49
	ds_write2_b32 v73, v90, v83 offset0:56 offset1:63
	ds_write_b32 v73, v80 offset:280
	;; [unrolled: 6-line block ×3, first 2 shown]
	s_and_saveexec_b64 s[6:7], s[0:1]
	s_cbranch_execz .LBB0_21
; %bb.20:
	v_add_f32_e32 v63, v1, v58
	v_add_f32_e32 v63, v63, v55
	;; [unrolled: 1-line block ×8, first 2 shown]
	v_sub_f32_e32 v56, v56, v60
	v_add_f32_e32 v63, v63, v59
	v_add_f32_e32 v58, v58, v61
	v_mul_f32_e32 v60, 0xbf0a6770, v56
	s_mov_b32 s0, 0x3f575c64
	v_mul_f32_e32 v67, 0xbf68dda4, v56
	s_mov_b32 s1, 0x3ed4b147
	v_mul_f32_e32 v78, 0xbf7d64f0, v56
	s_mov_b32 s8, 0xbe11bafb
	v_mul_f32_e32 v80, 0xbf4178ce, v56
	s_mov_b32 s9, 0xbf27a4f4
	v_mul_f32_e32 v56, 0xbe903f40, v56
	s_mov_b32 s12, 0xbf75a155
	v_add_f32_e32 v63, v63, v61
	v_fmamk_f32 v61, v58, 0x3f575c64, v60
	v_fma_f32 v60, v58, s0, -v60
	v_fmamk_f32 v73, v58, 0x3ed4b147, v67
	v_fma_f32 v67, v58, s1, -v67
	v_fmamk_f32 v79, v58, 0xbe11bafb, v78
	v_fma_f32 v78, v58, s8, -v78
	v_fmamk_f32 v81, v58, 0xbf27a4f4, v80
	v_fma_f32 v80, v58, s9, -v80
	v_fmamk_f32 v82, v58, 0xbf75a155, v56
	v_fma_f32 v56, v58, s12, -v56
	v_sub_f32_e32 v54, v54, v57
	v_add_f32_e32 v61, v1, v61
	v_add_f32_e32 v60, v1, v60
	;; [unrolled: 1-line block ×11, first 2 shown]
	v_mul_f32_e32 v56, 0xbf68dda4, v54
	v_fmamk_f32 v57, v55, 0x3ed4b147, v56
	v_fma_f32 v56, v55, s1, -v56
	v_mul_f32_e32 v58, 0xbf4178ce, v54
	v_add_f32_e32 v56, v56, v60
	v_fmamk_f32 v59, v55, 0xbf27a4f4, v58
	v_fma_f32 v58, v55, s9, -v58
	v_mul_f32_e32 v60, 0x3e903f40, v54
	v_add_f32_e32 v57, v57, v61
	v_add_f32_e32 v58, v58, v67
	v_fmamk_f32 v61, v55, 0xbf75a155, v60
	v_fma_f32 v60, v55, s12, -v60
	v_mul_f32_e32 v67, 0x3f7d64f0, v54
	v_mul_f32_e32 v54, 0x3f0a6770, v54
	v_sub_f32_e32 v21, v50, v21
	v_add_f32_e32 v60, v60, v78
	v_fmamk_f32 v78, v55, 0x3f575c64, v54
	v_fma_f32 v54, v55, s0, -v54
	v_add_f32_e32 v51, v51, v52
	v_mul_f32_e32 v50, 0xbf7d64f0, v21
	v_add_f32_e32 v1, v54, v1
	v_fmamk_f32 v52, v51, 0xbe11bafb, v50
	v_fma_f32 v50, v51, s8, -v50
	v_mul_f32_e32 v54, 0x3e903f40, v21
	v_add_f32_e32 v59, v59, v73
	v_fmamk_f32 v73, v55, 0xbe11bafb, v67
	v_fma_f32 v67, v55, s8, -v67
	v_add_f32_e32 v50, v50, v56
	v_fmamk_f32 v55, v51, 0xbf75a155, v54
	v_fma_f32 v54, v51, s12, -v54
	v_mul_f32_e32 v56, 0x3f68dda4, v21
	v_add_f32_e32 v52, v52, v57
	v_add_f32_e32 v54, v54, v58
	v_fmamk_f32 v57, v51, 0x3ed4b147, v56
	v_fma_f32 v56, v51, s1, -v56
	v_mul_f32_e32 v58, 0xbf0a6770, v21
	v_mul_f32_e32 v21, 0xbf4178ce, v21
	v_add_f32_e32 v56, v56, v60
	v_fmamk_f32 v60, v51, 0xbf27a4f4, v21
	v_fma_f32 v21, v51, s9, -v21
	v_sub_f32_e32 v20, v26, v20
	v_add_f32_e32 v1, v21, v1
	v_add_f32_e32 v21, v27, v49
	v_mul_f32_e32 v26, 0xbf4178ce, v20
	v_fmamk_f32 v27, v21, 0xbf27a4f4, v26
	v_fma_f32 v26, v21, s9, -v26
	v_mul_f32_e32 v49, 0x3f7d64f0, v20
	v_add_f32_e32 v55, v55, v59
	v_fmamk_f32 v59, v51, 0x3f575c64, v58
	v_fma_f32 v58, v51, s0, -v58
	v_add_f32_e32 v26, v26, v50
	v_fmamk_f32 v50, v21, 0xbe11bafb, v49
	v_fma_f32 v49, v21, s8, -v49
	v_mul_f32_e32 v51, 0xbf0a6770, v20
	v_add_f32_e32 v27, v27, v52
	v_add_f32_e32 v49, v49, v54
	v_fmamk_f32 v52, v21, 0x3f575c64, v51
	v_fma_f32 v51, v21, s0, -v51
	v_mul_f32_e32 v54, 0xbe903f40, v20
	v_mul_f32_e32 v20, 0x3f68dda4, v20
	v_add_f32_e32 v51, v51, v56
	v_fmamk_f32 v56, v21, 0x3ed4b147, v20
	v_fma_f32 v20, v21, s1, -v20
	v_sub_f32_e32 v0, v0, v23
	v_add_f32_e32 v50, v50, v55
	v_fmamk_f32 v55, v21, 0xbf75a155, v54
	v_fma_f32 v54, v21, s12, -v54
	v_add_f32_e32 v1, v20, v1
	v_add_f32_e32 v20, v22, v24
	v_mul_f32_e32 v21, 0xbe903f40, v0
	v_fmamk_f32 v22, v20, 0xbf75a155, v21
	v_fma_f32 v21, v20, s12, -v21
	v_mul_f32_e32 v23, 0x3f0a6770, v0
	v_add_f32_e32 v21, v21, v26
	v_fmamk_f32 v24, v20, 0x3f575c64, v23
	v_fma_f32 v23, v20, s0, -v23
	v_mul_f32_e32 v26, 0xbf4178ce, v0
	v_add_f32_e32 v22, v22, v27
	v_add_f32_e32 v23, v23, v49
	v_fmamk_f32 v27, v20, 0xbf27a4f4, v26
	v_fma_f32 v26, v20, s9, -v26
	v_mul_f32_e32 v49, 0x3f68dda4, v0
	v_mul_f32_e32 v0, 0xbf7d64f0, v0
	v_add_f32_e32 v61, v61, v79
	v_add_f32_e32 v73, v73, v81
	;; [unrolled: 1-line block ×6, first 2 shown]
	v_fmamk_f32 v50, v20, 0x3ed4b147, v49
	v_fma_f32 v49, v20, s1, -v49
	v_fmamk_f32 v51, v20, 0xbe11bafb, v0
	v_fma_f32 v0, v20, s8, -v0
	v_mov_b32_e32 v20, 2
	v_add_f32_e32 v57, v57, v61
	v_add_f32_e32 v59, v59, v73
	;; [unrolled: 1-line block ×5, first 2 shown]
	v_mul_u32_u24_e32 v1, 0x134, v25
	v_lshlrev_b32_sdwa v20, v20, v48 dst_sel:DWORD dst_unused:UNUSED_PAD src0_sel:DWORD src1_sel:BYTE_0
	v_add_f32_e32 v52, v52, v57
	v_add_f32_e32 v55, v55, v59
	;; [unrolled: 1-line block ×4, first 2 shown]
	v_add3_u32 v1, 0, v1, v20
	v_add_f32_e32 v27, v27, v52
	v_add_f32_e32 v50, v50, v55
	v_add_f32_e32 v49, v49, v54
	v_add_f32_e32 v51, v51, v56
	ds_write2_b32 v1, v63, v22 offset1:7
	ds_write2_b32 v1, v24, v27 offset0:14 offset1:21
	ds_write2_b32 v1, v50, v51 offset0:28 offset1:35
	;; [unrolled: 1-line block ×4, first 2 shown]
	ds_write_b32 v1, v21 offset:280
.LBB0_21:
	s_or_b64 exec, exec, s[6:7]
	v_lshlrev_b32_e32 v0, 2, v118
	v_mov_b32_e32 v1, 0
	v_lshl_add_u64 v[20:21], v[0:1], 3, s[4:5]
	v_subrev_u32_e32 v0, 22, v118
	v_cmp_gt_u32_e64 s[0:1], 22, v118
	s_waitcnt lgkmcnt(0)
	; wave barrier
	s_waitcnt lgkmcnt(0)
	v_cndmask_b32_e64 v0, v0, v86, s[0:1]
	v_lshlrev_b32_e32 v0, 2, v0
	global_load_dwordx4 v[78:81], v[20:21], off offset:560
	global_load_dwordx4 v[82:85], v[20:21], off offset:576
	v_lshl_add_u64 v[24:25], v[0:1], 3, s[4:5]
	global_load_dwordx4 v[88:91], v[24:25], off offset:560
	s_movk_i32 s0, 0xd5
	ds_read2_b32 v[22:23], v119 offset1:55
	ds_read2_b32 v[60:61], v66 offset0:129 offset1:184
	global_load_dwordx4 v[92:95], v[24:25], off offset:576
	v_mul_lo_u16_sdwa v25, v87, s0 dst_sel:DWORD dst_unused:UNUSED_PAD src0_sel:BYTE_0 src1_sel:DWORD
	v_lshrrev_b16_e32 v50, 14, v25
	v_mul_lo_u16_e32 v25, 0x4d, v50
	v_mov_b32_e32 v24, 5
	v_sub_u16_e32 v55, v87, v25
	v_mul_lo_u16_sdwa v26, v104, s0 dst_sel:DWORD dst_unused:UNUSED_PAD src0_sel:BYTE_0 src1_sel:DWORD
	v_lshlrev_b32_sdwa v24, v24, v55 dst_sel:DWORD dst_unused:UNUSED_PAD src0_sel:DWORD src1_sel:BYTE_0
	v_lshrrev_b16_e32 v26, 14, v26
	v_add_u32_e32 v58, 0xdc, v118
	ds_read2_b32 v[48:49], v72 offset0:75 offset1:130
	global_load_dwordx4 v[96:99], v24, s[4:5] offset:576
	global_load_dwordx4 v[100:103], v24, s[4:5] offset:560
	v_mul_lo_u16_e32 v26, 0x4d, v26
	s_movk_i32 s0, 0x1a99
	v_add_u32_e32 v56, 0x113, v118
	v_sub_u16_e32 v26, v104, v26
	v_mul_u32_u24_sdwa v52, v58, s0 dst_sel:DWORD dst_unused:UNUSED_PAD src0_sel:WORD_0 src1_sel:DWORD
	v_and_b32_e32 v51, 0xff, v26
	v_mul_u32_u24_sdwa v63, v56, s0 dst_sel:DWORD dst_unused:UNUSED_PAD src0_sel:WORD_0 src1_sel:DWORD
	v_lshrrev_b32_e32 v54, 19, v52
	v_lshlrev_b32_e32 v26, 5, v51
	v_lshrrev_b32_e32 v52, 19, v63
	v_mul_lo_u16_e32 v63, 0x4d, v54
	ds_read2_b32 v[132:133], v64 offset0:131 offset1:186
	ds_read2_b32 v[134:135], v77 offset0:77 offset1:132
	;; [unrolled: 1-line block ×4, first 2 shown]
	ds_read_b32 v59, v119 offset:440
	ds_read2_b32 v[140:141], v76 offset0:111 offset1:166
	ds_read2_b32 v[142:143], v75 offset0:113 offset1:168
	;; [unrolled: 1-line block ×3, first 2 shown]
	global_load_dwordx4 v[106:109], v26, s[4:5] offset:576
	global_load_dwordx4 v[110:113], v26, s[4:5] offset:560
	v_sub_u16_e32 v63, v58, v63
	v_lshlrev_b32_e32 v67, 5, v63
	ds_read2_b32 v[144:145], v68 offset0:167 offset1:222
	ds_read2_b32 v[146:147], v65 offset0:169 offset1:224
	;; [unrolled: 1-line block ×7, first 2 shown]
	global_load_dwordx4 v[114:117], v67, s[4:5] offset:576
	global_load_dwordx4 v[120:123], v67, s[4:5] offset:560
	v_mul_lo_u16_e32 v67, 0x4d, v52
	v_sub_u16_e32 v67, v56, v67
	v_lshlrev_b32_e32 v73, 5, v67
	global_load_dwordx4 v[124:127], v73, s[4:5] offset:576
	global_load_dwordx4 v[128:131], v73, s[4:5] offset:560
	v_add_u32_e32 v57, 0x14a, v118
	s_mov_b32 s6, 0x3f737871
	s_mov_b32 s8, 0x3f167918
	;; [unrolled: 1-line block ×3, first 2 shown]
	s_waitcnt vmcnt(11) lgkmcnt(14)
	v_mul_f32_e32 v73, v60, v79
	v_mul_f32_e32 v105, v46, v79
	;; [unrolled: 1-line block ×4, first 2 shown]
	s_waitcnt vmcnt(10)
	v_mul_f32_e32 v81, v132, v83
	v_mul_f32_e32 v157, v44, v83
	s_waitcnt lgkmcnt(13)
	v_mul_f32_e32 v83, v135, v85
	v_mul_f32_e32 v158, v13, v85
	v_fmac_f32_e32 v156, v49, v80
	v_fma_f32 v49, v13, v84, -v83
	s_waitcnt vmcnt(9)
	v_mul_f32_e32 v13, v61, v89
	v_fma_f32 v46, v46, v78, -v73
	v_mul_f32_e32 v73, v47, v89
	v_fma_f32 v47, v47, v88, -v13
	v_mul_u32_u24_sdwa v13, v57, s0 dst_sel:DWORD dst_unused:UNUSED_PAD src0_sel:WORD_0 src1_sel:DWORD
	v_lshrrev_b32_e32 v13, 19, v13
	v_mul_lo_u16_e32 v13, 0x4d, v13
	v_sub_u16_e32 v13, v57, v13
	v_fmac_f32_e32 v73, v61, v88
	v_lshlrev_b32_e32 v61, 5, v13
	v_fmac_f32_e32 v105, v60, v78
	v_fma_f32 v60, v15, v80, -v79
	v_fma_f32 v44, v44, v82, -v81
	v_fmac_f32_e32 v157, v132, v82
	v_fmac_f32_e32 v158, v135, v84
	global_load_dwordx4 v[78:81], v61, s[4:5] offset:576
	global_load_dwordx4 v[82:85], v61, s[4:5] offset:560
	s_waitcnt lgkmcnt(12)
	v_mul_f32_e32 v15, v136, v91
	v_fma_f32 v61, v42, v90, -v15
	s_waitcnt vmcnt(10)
	v_mul_f32_e32 v15, v133, v93
	v_mul_f32_e32 v88, v42, v91
	v_fma_f32 v89, v45, v92, -v15
	s_waitcnt lgkmcnt(11)
	v_mul_f32_e32 v15, v138, v95
	v_fmac_f32_e32 v88, v136, v90
	v_mul_f32_e32 v45, v45, v93
	v_fma_f32 v90, v40, v94, -v15
	v_mul_f32_e32 v91, v40, v95
	v_mov_b32_e32 v15, 2
	s_waitcnt vmcnt(8) lgkmcnt(9)
	v_mul_f32_e32 v40, v140, v101
	v_fmac_f32_e32 v45, v133, v92
	v_lshlrev_b32_sdwa v15, v15, v55 dst_sel:DWORD dst_unused:UNUSED_PAD src0_sel:DWORD src1_sel:BYTE_0
	v_fma_f32 v55, v38, v100, -v40
	v_mul_f32_e32 v92, v38, v101
	v_mul_f32_e32 v38, v137, v103
	v_fma_f32 v93, v43, v102, -v38
	s_waitcnt lgkmcnt(8)
	v_mul_f32_e32 v38, v142, v97
	v_fmac_f32_e32 v91, v138, v94
	v_fma_f32 v94, v36, v96, -v38
	v_mul_f32_e32 v95, v36, v97
	v_mul_f32_e32 v36, v139, v99
	v_fmac_f32_e32 v95, v142, v96
	v_fma_f32 v96, v41, v98, -v36
	v_mul_f32_e32 v97, v41, v99
	s_waitcnt vmcnt(6)
	v_mul_f32_e32 v36, v141, v111
	v_fmac_f32_e32 v97, v139, v98
	v_fma_f32 v98, v39, v110, -v36
	s_waitcnt lgkmcnt(6)
	v_mul_f32_e32 v36, v144, v113
	v_fmac_f32_e32 v92, v140, v100
	v_mul_f32_e32 v43, v43, v103
	v_fma_f32 v100, v34, v112, -v36
	v_mul_f32_e32 v101, v34, v113
	v_mul_f32_e32 v34, v143, v107
	v_fmac_f32_e32 v43, v137, v102
	v_fma_f32 v102, v37, v106, -v34
	v_mul_f32_e32 v103, v37, v107
	s_waitcnt lgkmcnt(5)
	v_mul_f32_e32 v34, v146, v109
	v_fmac_f32_e32 v103, v143, v106
	v_fma_f32 v106, v32, v108, -v34
	v_mul_f32_e32 v107, v32, v109
	s_waitcnt vmcnt(4) lgkmcnt(4)
	v_mul_f32_e32 v34, v148, v121
	v_fmac_f32_e32 v107, v146, v108
	v_lshlrev_b32_e32 v32, 2, v63
	v_fma_f32 v63, v30, v120, -v34
	v_mul_f32_e32 v108, v30, v121
	v_mul_f32_e32 v30, v145, v123
	v_fma_f32 v109, v35, v122, -v30
	s_waitcnt lgkmcnt(3)
	v_mul_f32_e32 v30, v150, v115
	v_mul_f32_e32 v99, v39, v111
	v_fmac_f32_e32 v101, v144, v112
	v_fma_f32 v111, v28, v114, -v30
	v_mul_f32_e32 v112, v28, v115
	v_mul_f32_e32 v28, v147, v117
	s_waitcnt vmcnt(2)
	v_mul_f32_e32 v30, v149, v129
	v_fmac_f32_e32 v112, v150, v114
	v_fma_f32 v113, v33, v116, -v28
	v_mul_f32_e32 v114, v33, v117
	v_lshlrev_b32_e32 v28, 2, v67
	v_fma_f32 v67, v31, v128, -v30
	s_waitcnt lgkmcnt(1)
	v_mul_f32_e32 v30, v152, v131
	v_fmac_f32_e32 v114, v147, v116
	v_fma_f32 v116, v18, v130, -v30
	v_mul_f32_e32 v117, v18, v131
	v_mul_f32_e32 v18, v151, v125
	v_fmac_f32_e32 v99, v141, v110
	v_fmac_f32_e32 v108, v148, v120
	v_mul_f32_e32 v110, v35, v123
	v_fma_f32 v120, v29, v124, -v18
	s_waitcnt lgkmcnt(0)
	v_mul_f32_e32 v18, v154, v127
	v_fmac_f32_e32 v110, v145, v122
	v_fma_f32 v122, v16, v126, -v18
	v_mul_f32_e32 v121, v29, v125
	v_mul_f32_e32 v123, v16, v127
	v_sub_f32_e32 v34, v105, v158
	v_mul_f32_e32 v115, v31, v129
	v_sub_f32_e32 v35, v156, v157
	s_waitcnt vmcnt(1)
	v_mul_f32_e32 v18, v134, v79
	v_fma_f32 v33, v12, v78, -v18
	v_mul_f32_e32 v18, v12, v79
	v_mul_f32_e32 v12, v155, v81
	s_waitcnt vmcnt(0)
	v_mul_f32_e32 v16, v48, v83
	v_fma_f32 v42, v17, v80, -v12
	v_mul_f32_e32 v29, v17, v81
	v_add_f32_e32 v17, v60, v44
	v_fma_f32 v30, v14, v82, -v16
	v_mul_f32_e32 v16, v153, v85
	v_fma_f32 v17, -0.5, v17, v6
	v_fma_f32 v31, v19, v84, -v16
	v_mul_f32_e32 v16, v19, v85
	v_fmamk_f32 v19, v34, 0x3f737871, v17
	v_sub_f32_e32 v36, v46, v60
	v_sub_f32_e32 v37, v49, v44
	v_fmac_f32_e32 v17, 0xbf737871, v34
	v_fmac_f32_e32 v19, 0x3f167918, v35
	v_add_f32_e32 v36, v36, v37
	v_fmac_f32_e32 v17, 0xbf167918, v35
	v_fmac_f32_e32 v19, 0x3e9e377a, v36
	;; [unrolled: 1-line block ×3, first 2 shown]
	v_add_f32_e32 v36, v46, v49
	v_add_f32_e32 v12, v6, v46
	v_fma_f32 v6, -0.5, v36, v6
	v_fmamk_f32 v40, v35, 0xbf737871, v6
	v_sub_f32_e32 v36, v60, v46
	v_sub_f32_e32 v37, v44, v49
	v_fmac_f32_e32 v6, 0x3f737871, v35
	v_add_f32_e32 v35, v156, v157
	v_fmac_f32_e32 v40, 0x3f167918, v34
	v_add_f32_e32 v36, v36, v37
	v_fmac_f32_e32 v6, 0xbf167918, v34
	v_fma_f32 v35, -0.5, v35, v22
	v_sub_f32_e32 v38, v46, v49
	v_fmac_f32_e32 v40, 0x3e9e377a, v36
	v_fmac_f32_e32 v6, 0x3e9e377a, v36
	v_fmamk_f32 v36, v38, 0xbf737871, v35
	v_sub_f32_e32 v39, v60, v44
	v_sub_f32_e32 v37, v105, v156
	;; [unrolled: 1-line block ×3, first 2 shown]
	v_fmac_f32_e32 v35, 0x3f737871, v38
	v_fmac_f32_e32 v36, 0xbf167918, v39
	v_add_f32_e32 v37, v37, v41
	v_fmac_f32_e32 v35, 0x3f167918, v39
	v_fmac_f32_e32 v36, 0x3e9e377a, v37
	;; [unrolled: 1-line block ×3, first 2 shown]
	v_add_f32_e32 v37, v105, v158
	v_add_f32_e32 v34, v22, v105
	v_fma_f32 v22, -0.5, v37, v22
	v_fmamk_f32 v37, v39, 0x3f737871, v22
	v_fmac_f32_e32 v22, 0xbf737871, v39
	v_fmac_f32_e32 v37, 0xbf167918, v38
	v_fmac_f32_e32 v22, 0x3f167918, v38
	v_add_f32_e32 v38, v7, v47
	v_add_f32_e32 v12, v12, v60
	;; [unrolled: 1-line block ×4, first 2 shown]
	v_sub_f32_e32 v41, v156, v105
	v_sub_f32_e32 v44, v157, v158
	v_add_f32_e32 v38, v38, v89
	v_add_f32_e32 v41, v41, v44
	;; [unrolled: 1-line block ×4, first 2 shown]
	v_mul_f32_e32 v14, v14, v83
	v_fma_f32 v46, -0.5, v38, v7
	v_sub_f32_e32 v38, v73, v91
	v_fmac_f32_e32 v14, v48, v82
	v_add_f32_e32 v12, v12, v49
	v_fmac_f32_e32 v37, 0x3e9e377a, v41
	v_fmac_f32_e32 v22, 0x3e9e377a, v41
	v_fmamk_f32 v48, v38, 0x3f737871, v46
	v_sub_f32_e32 v39, v88, v45
	v_sub_f32_e32 v41, v47, v61
	;; [unrolled: 1-line block ×3, first 2 shown]
	v_fmac_f32_e32 v46, 0xbf737871, v38
	v_fmac_f32_e32 v48, 0x3f167918, v39
	v_add_f32_e32 v41, v41, v49
	v_fmac_f32_e32 v46, 0xbf167918, v39
	v_fmac_f32_e32 v48, 0x3e9e377a, v41
	;; [unrolled: 1-line block ×3, first 2 shown]
	v_add_f32_e32 v41, v47, v90
	v_fmac_f32_e32 v7, -0.5, v41
	v_fmamk_f32 v49, v39, 0xbf737871, v7
	v_sub_f32_e32 v41, v61, v47
	v_sub_f32_e32 v60, v89, v90
	v_fmac_f32_e32 v7, 0x3f737871, v39
	v_add_f32_e32 v39, v88, v45
	v_fmac_f32_e32 v49, 0x3f167918, v38
	v_add_f32_e32 v41, v41, v60
	v_fmac_f32_e32 v7, 0xbf167918, v38
	v_fma_f32 v39, -0.5, v39, v23
	v_sub_f32_e32 v47, v47, v90
	v_fmac_f32_e32 v18, v134, v78
	v_fmac_f32_e32 v49, 0x3e9e377a, v41
	;; [unrolled: 1-line block ×3, first 2 shown]
	v_fmamk_f32 v41, v47, 0xbf737871, v39
	v_sub_f32_e32 v60, v61, v89
	v_sub_f32_e32 v61, v73, v88
	;; [unrolled: 1-line block ×3, first 2 shown]
	v_fmac_f32_e32 v39, 0x3f737871, v47
	v_fmac_f32_e32 v41, 0xbf167918, v60
	v_add_f32_e32 v61, v61, v78
	v_fmac_f32_e32 v39, 0x3f167918, v60
	v_fmac_f32_e32 v41, 0x3e9e377a, v61
	;; [unrolled: 1-line block ×3, first 2 shown]
	v_add_f32_e32 v61, v73, v91
	v_add_f32_e32 v38, v23, v73
	v_fmac_f32_e32 v23, -0.5, v61
	v_fmamk_f32 v78, v60, 0x3f737871, v23
	v_fmac_f32_e32 v23, 0xbf737871, v60
	v_add_f32_e32 v38, v38, v88
	v_fmac_f32_e32 v78, 0xbf167918, v47
	v_fmac_f32_e32 v23, 0x3f167918, v47
	v_add_f32_e32 v47, v93, v94
	v_add_f32_e32 v38, v38, v45
	v_sub_f32_e32 v61, v88, v73
	v_sub_f32_e32 v45, v45, v91
	v_fma_f32 v47, -0.5, v47, v62
	v_sub_f32_e32 v60, v92, v97
	v_fmac_f32_e32 v29, v155, v80
	v_add_f32_e32 v45, v61, v45
	v_fmamk_f32 v61, v60, 0x3f737871, v47
	v_sub_f32_e32 v73, v43, v95
	v_sub_f32_e32 v79, v55, v93
	;; [unrolled: 1-line block ×3, first 2 shown]
	v_fmac_f32_e32 v47, 0xbf737871, v60
	v_fmac_f32_e32 v61, 0x3f167918, v73
	v_add_f32_e32 v79, v79, v80
	v_fmac_f32_e32 v47, 0xbf167918, v73
	v_fmac_f32_e32 v61, 0x3e9e377a, v79
	;; [unrolled: 1-line block ×3, first 2 shown]
	v_add_f32_e32 v79, v55, v96
	v_fmac_f32_e32 v78, 0x3e9e377a, v45
	v_fmac_f32_e32 v23, 0x3e9e377a, v45
	v_add_f32_e32 v45, v62, v55
	v_fmac_f32_e32 v62, -0.5, v79
	v_fmamk_f32 v79, v73, 0xbf737871, v62
	v_fmac_f32_e32 v62, 0x3f737871, v73
	v_fmac_f32_e32 v79, 0x3f167918, v60
	;; [unrolled: 1-line block ×3, first 2 shown]
	v_add_f32_e32 v60, v59, v92
	v_sub_f32_e32 v80, v93, v55
	v_sub_f32_e32 v81, v94, v96
	v_add_f32_e32 v60, v60, v43
	v_add_f32_e32 v80, v80, v81
	;; [unrolled: 1-line block ×3, first 2 shown]
	v_fmac_f32_e32 v79, 0x3e9e377a, v80
	v_fmac_f32_e32 v62, 0x3e9e377a, v80
	v_add_f32_e32 v80, v60, v97
	v_add_f32_e32 v60, v43, v95
	v_fma_f32 v81, -0.5, v60, v59
	v_sub_f32_e32 v55, v55, v96
	v_fmamk_f32 v82, v55, 0xbf737871, v81
	v_sub_f32_e32 v60, v93, v94
	v_sub_f32_e32 v73, v92, v43
	v_sub_f32_e32 v83, v97, v95
	v_fmac_f32_e32 v81, 0x3f737871, v55
	v_fmac_f32_e32 v82, 0xbf167918, v60
	v_add_f32_e32 v73, v73, v83
	v_fmac_f32_e32 v81, 0x3f167918, v60
	v_fmac_f32_e32 v82, 0x3e9e377a, v73
	v_fmac_f32_e32 v81, 0x3e9e377a, v73
	v_add_f32_e32 v73, v92, v97
	v_fmac_f32_e32 v59, -0.5, v73
	v_fmamk_f32 v83, v60, 0x3f737871, v59
	v_fmac_f32_e32 v59, 0xbf737871, v60
	v_fmac_f32_e32 v83, 0xbf167918, v55
	;; [unrolled: 1-line block ×3, first 2 shown]
	v_add_f32_e32 v55, v100, v102
	v_sub_f32_e32 v43, v43, v92
	v_sub_f32_e32 v73, v95, v97
	v_fma_f32 v55, -0.5, v55, v10
	v_sub_f32_e32 v60, v99, v107
	v_fmac_f32_e32 v16, v153, v84
	v_add_f32_e32 v43, v43, v73
	v_fmamk_f32 v73, v60, 0x3f737871, v55
	v_sub_f32_e32 v84, v101, v103
	v_sub_f32_e32 v85, v98, v100
	;; [unrolled: 1-line block ×3, first 2 shown]
	v_fmac_f32_e32 v55, 0xbf737871, v60
	v_fmac_f32_e32 v73, 0x3f167918, v84
	v_add_f32_e32 v85, v85, v88
	v_fmac_f32_e32 v55, 0xbf167918, v84
	v_fmac_f32_e32 v73, 0x3e9e377a, v85
	;; [unrolled: 1-line block ×3, first 2 shown]
	v_add_f32_e32 v85, v98, v106
	v_fmac_f32_e32 v83, 0x3e9e377a, v43
	v_fmac_f32_e32 v59, 0x3e9e377a, v43
	v_add_f32_e32 v43, v10, v98
	v_fma_f32 v10, -0.5, v85, v10
	v_fmamk_f32 v85, v84, 0xbf737871, v10
	v_fmac_f32_e32 v10, 0x3f737871, v84
	v_fmac_f32_e32 v85, 0x3f167918, v60
	;; [unrolled: 1-line block ×3, first 2 shown]
	v_add_f32_e32 v60, v24, v99
	v_add_f32_e32 v60, v60, v101
	v_sub_f32_e32 v88, v100, v98
	v_sub_f32_e32 v89, v102, v106
	v_add_f32_e32 v60, v60, v103
	v_add_f32_e32 v88, v88, v89
	;; [unrolled: 1-line block ×4, first 2 shown]
	v_fmac_f32_e32 v85, 0x3e9e377a, v88
	v_fmac_f32_e32 v10, 0x3e9e377a, v88
	v_fma_f32 v88, -0.5, v60, v24
	v_sub_f32_e32 v60, v98, v106
	v_add_f32_e32 v38, v38, v91
	v_fmamk_f32 v89, v60, 0xbf737871, v88
	v_sub_f32_e32 v90, v100, v102
	v_sub_f32_e32 v91, v99, v101
	;; [unrolled: 1-line block ×3, first 2 shown]
	v_fmac_f32_e32 v88, 0x3f737871, v60
	v_fmac_f32_e32 v89, 0xbf167918, v90
	v_add_f32_e32 v91, v91, v92
	v_fmac_f32_e32 v88, 0x3f167918, v90
	v_fmac_f32_e32 v89, 0x3e9e377a, v91
	;; [unrolled: 1-line block ×3, first 2 shown]
	v_add_f32_e32 v91, v99, v107
	v_fma_f32 v24, -0.5, v91, v24
	v_add_f32_e32 v45, v45, v93
	v_fmamk_f32 v91, v90, 0x3f737871, v24
	v_sub_f32_e32 v92, v101, v99
	v_sub_f32_e32 v93, v103, v107
	v_fmac_f32_e32 v24, 0xbf737871, v90
	v_fmac_f32_e32 v91, 0xbf167918, v60
	v_add_f32_e32 v92, v92, v93
	v_fmac_f32_e32 v24, 0x3f167918, v60
	v_add_f32_e32 v90, v109, v111
	v_add_f32_e32 v45, v45, v94
	v_fmac_f32_e32 v91, 0x3e9e377a, v92
	v_fmac_f32_e32 v24, 0x3e9e377a, v92
	v_fma_f32 v90, -0.5, v90, v11
	v_sub_f32_e32 v92, v108, v114
	v_add_f32_e32 v45, v45, v96
	v_fmamk_f32 v93, v92, 0x3f737871, v90
	v_sub_f32_e32 v94, v110, v112
	v_sub_f32_e32 v95, v63, v109
	;; [unrolled: 1-line block ×3, first 2 shown]
	v_fmac_f32_e32 v90, 0xbf737871, v92
	v_fmac_f32_e32 v93, 0x3f167918, v94
	v_add_f32_e32 v95, v95, v96
	v_fmac_f32_e32 v90, 0xbf167918, v94
	v_fmac_f32_e32 v93, 0x3e9e377a, v95
	;; [unrolled: 1-line block ×3, first 2 shown]
	v_add_f32_e32 v95, v63, v113
	v_add_f32_e32 v60, v11, v63
	v_fmac_f32_e32 v11, -0.5, v95
	v_fmamk_f32 v95, v94, 0xbf737871, v11
	v_sub_f32_e32 v96, v109, v63
	v_sub_f32_e32 v97, v111, v113
	v_fmac_f32_e32 v11, 0x3f737871, v94
	v_add_f32_e32 v94, v110, v112
	v_fmac_f32_e32 v95, 0x3f167918, v92
	v_add_f32_e32 v96, v96, v97
	v_fmac_f32_e32 v11, 0xbf167918, v92
	v_fma_f32 v94, -0.5, v94, v25
	v_sub_f32_e32 v63, v63, v113
	v_fmac_f32_e32 v95, 0x3e9e377a, v96
	v_fmac_f32_e32 v11, 0x3e9e377a, v96
	v_fmamk_f32 v96, v63, 0xbf737871, v94
	v_sub_f32_e32 v97, v109, v111
	v_sub_f32_e32 v98, v108, v110
	;; [unrolled: 1-line block ×3, first 2 shown]
	v_fmac_f32_e32 v94, 0x3f737871, v63
	v_fmac_f32_e32 v96, 0xbf167918, v97
	v_add_f32_e32 v98, v98, v99
	v_fmac_f32_e32 v94, 0x3f167918, v97
	v_fmac_f32_e32 v96, 0x3e9e377a, v98
	;; [unrolled: 1-line block ×3, first 2 shown]
	v_add_f32_e32 v98, v108, v114
	v_add_f32_e32 v92, v25, v108
	v_fmac_f32_e32 v25, -0.5, v98
	v_add_f32_e32 v43, v43, v100
	v_fmamk_f32 v98, v97, 0x3f737871, v25
	v_sub_f32_e32 v99, v110, v108
	v_sub_f32_e32 v100, v112, v114
	v_fmac_f32_e32 v25, 0xbf737871, v97
	v_fmac_f32_e32 v115, v149, v128
	;; [unrolled: 1-line block ×4, first 2 shown]
	v_add_f32_e32 v99, v99, v100
	v_fmac_f32_e32 v25, 0x3f167918, v63
	v_add_f32_e32 v97, v116, v120
	v_fmac_f32_e32 v117, v152, v130
	v_fmac_f32_e32 v121, v151, v124
	;; [unrolled: 1-line block ×4, first 2 shown]
	v_fma_f32 v97, -0.5, v97, v8
	v_sub_f32_e32 v99, v115, v123
	v_add_f32_e32 v43, v43, v102
	v_fmamk_f32 v100, v99, 0x3f737871, v97
	v_sub_f32_e32 v101, v117, v121
	v_sub_f32_e32 v102, v67, v116
	;; [unrolled: 1-line block ×3, first 2 shown]
	v_fmac_f32_e32 v97, 0xbf737871, v99
	v_fmac_f32_e32 v100, 0x3f167918, v101
	v_add_f32_e32 v102, v102, v103
	v_fmac_f32_e32 v97, 0xbf167918, v101
	v_fmac_f32_e32 v100, 0x3e9e377a, v102
	;; [unrolled: 1-line block ×3, first 2 shown]
	v_add_f32_e32 v102, v67, v122
	v_add_f32_e32 v63, v8, v67
	v_fma_f32 v8, -0.5, v102, v8
	v_fmamk_f32 v102, v101, 0xbf737871, v8
	v_sub_f32_e32 v103, v116, v67
	v_sub_f32_e32 v105, v120, v122
	v_fmac_f32_e32 v8, 0x3f737871, v101
	v_add_f32_e32 v101, v117, v121
	v_fmac_f32_e32 v102, 0x3f167918, v99
	v_add_f32_e32 v103, v103, v105
	v_fmac_f32_e32 v8, 0xbf167918, v99
	v_fma_f32 v101, -0.5, v101, v26
	v_sub_f32_e32 v67, v67, v122
	v_add_f32_e32 v43, v43, v106
	v_fmac_f32_e32 v102, 0x3e9e377a, v103
	v_fmac_f32_e32 v8, 0x3e9e377a, v103
	v_fmamk_f32 v103, v67, 0xbf737871, v101
	v_sub_f32_e32 v105, v116, v120
	v_sub_f32_e32 v106, v115, v117
	;; [unrolled: 1-line block ×3, first 2 shown]
	v_fmac_f32_e32 v101, 0x3f737871, v67
	v_fmac_f32_e32 v103, 0xbf167918, v105
	v_add_f32_e32 v106, v106, v107
	v_fmac_f32_e32 v101, 0x3f167918, v105
	v_fmac_f32_e32 v103, 0x3e9e377a, v106
	;; [unrolled: 1-line block ×3, first 2 shown]
	v_add_f32_e32 v106, v115, v123
	v_add_f32_e32 v99, v26, v115
	v_fma_f32 v26, -0.5, v106, v26
	v_fmamk_f32 v106, v105, 0x3f737871, v26
	v_sub_f32_e32 v107, v117, v115
	v_sub_f32_e32 v108, v121, v123
	v_fmac_f32_e32 v26, 0xbf737871, v105
	v_fmac_f32_e32 v106, 0xbf167918, v67
	v_add_f32_e32 v107, v107, v108
	v_fmac_f32_e32 v26, 0x3f167918, v67
	v_add_f32_e32 v105, v31, v33
	v_add_f32_e32 v60, v60, v109
	v_fmac_f32_e32 v106, 0x3e9e377a, v107
	v_fmac_f32_e32 v26, 0x3e9e377a, v107
	v_fma_f32 v105, -0.5, v105, v9
	v_sub_f32_e32 v107, v14, v29
	v_add_f32_e32 v60, v60, v111
	v_add_f32_e32 v92, v92, v110
	v_fmamk_f32 v108, v107, 0x3f737871, v105
	v_sub_f32_e32 v109, v16, v18
	v_sub_f32_e32 v110, v30, v31
	;; [unrolled: 1-line block ×3, first 2 shown]
	v_fmac_f32_e32 v105, 0xbf737871, v107
	v_fmac_f32_e32 v108, 0x3f167918, v109
	v_add_f32_e32 v110, v110, v111
	v_fmac_f32_e32 v105, 0xbf167918, v109
	v_fmac_f32_e32 v108, 0x3e9e377a, v110
	;; [unrolled: 1-line block ×3, first 2 shown]
	v_add_f32_e32 v110, v30, v42
	v_add_f32_e32 v67, v9, v30
	v_fmac_f32_e32 v9, -0.5, v110
	v_add_f32_e32 v92, v92, v112
	v_add_f32_e32 v67, v67, v31
	v_fmamk_f32 v110, v109, 0xbf737871, v9
	v_sub_f32_e32 v111, v31, v30
	v_sub_f32_e32 v112, v33, v42
	v_fmac_f32_e32 v9, 0x3f737871, v109
	v_add_f32_e32 v109, v16, v18
	v_add_f32_e32 v67, v67, v33
	v_fmac_f32_e32 v110, 0x3f167918, v107
	v_add_f32_e32 v111, v111, v112
	v_fmac_f32_e32 v9, 0xbf167918, v107
	v_fma_f32 v109, -0.5, v109, v27
	v_sub_f32_e32 v30, v30, v42
	v_add_f32_e32 v67, v67, v42
	v_fmac_f32_e32 v110, 0x3e9e377a, v111
	v_fmac_f32_e32 v9, 0x3e9e377a, v111
	v_fmamk_f32 v111, v30, 0xbf737871, v109
	v_sub_f32_e32 v31, v31, v33
	v_sub_f32_e32 v33, v14, v16
	;; [unrolled: 1-line block ×3, first 2 shown]
	v_fmac_f32_e32 v109, 0x3f737871, v30
	s_waitcnt lgkmcnt(0)
	; wave barrier
	ds_write2_b32 v119, v12, v19 offset1:77
	ds_write2_b32 v119, v40, v6 offset0:154 offset1:231
	ds_write_b32 v119, v17 offset:1232
	v_mov_b32_e32 v6, 0x604
	v_cmp_lt_u32_e64 s[0:1], 21, v118
	v_fmac_f32_e32 v111, 0xbf167918, v31
	v_add_f32_e32 v33, v33, v42
	v_fmac_f32_e32 v109, 0x3f167918, v31
	v_cndmask_b32_e64 v6, 0, v6, s[0:1]
	v_fmac_f32_e32 v111, 0x3e9e377a, v33
	v_fmac_f32_e32 v109, 0x3e9e377a, v33
	v_add_f32_e32 v33, v14, v29
	v_add3_u32 v0, 0, v6, v0
	v_mul_u32_u24_e32 v6, 0x604, v50
	v_add_f32_e32 v63, v63, v116
	v_add_f32_e32 v107, v27, v14
	v_fmac_f32_e32 v27, -0.5, v33
	v_add3_u32 v40, 0, v6, v15
	v_mul_u32_u24_e32 v6, 0x604, v54
	v_add_f32_e32 v63, v63, v120
	v_add_f32_e32 v107, v107, v16
	v_fmamk_f32 v112, v31, 0x3f737871, v27
	v_sub_f32_e32 v14, v16, v14
	v_sub_f32_e32 v16, v18, v29
	v_fmac_f32_e32 v27, 0xbf737871, v31
	ds_write2_b32 v0, v44, v48 offset1:77
	ds_write2_b32 v0, v49, v7 offset0:154 offset1:231
	ds_write_b32 v0, v46 offset:1232
	v_lshl_add_u32 v44, v51, 2, 0
	v_add3_u32 v46, 0, v6, v32
	v_mul_u32_u24_e32 v6, 0x604, v52
	v_lshl_add_u32 v48, v13, 2, 0
	v_add_f32_e32 v60, v60, v113
	v_add_f32_e32 v63, v63, v122
	;; [unrolled: 1-line block ×3, first 2 shown]
	v_fmac_f32_e32 v112, 0xbf167918, v30
	v_add_f32_e32 v14, v14, v16
	v_fmac_f32_e32 v27, 0x3f167918, v30
	ds_write2_b32 v40, v45, v61 offset1:77
	ds_write2_b32 v40, v79, v62 offset0:154 offset1:231
	ds_write_b32 v40, v47 offset:1232
	v_add_u32_e32 v45, 0xc00, v44
	v_add3_u32 v47, 0, v6, v28
	v_add_u32_e32 v49, 0x1800, v48
	v_add_f32_e32 v107, v107, v29
	v_fmac_f32_e32 v112, 0x3e9e377a, v14
	v_fmac_f32_e32 v27, 0x3e9e377a, v14
	ds_write2_b32 v45, v43, v73 offset0:2 offset1:79
	ds_write2_b32 v45, v85, v10 offset0:156 offset1:233
	ds_write_b32 v44, v55 offset:4312
	ds_write2_b32 v46, v60, v93 offset1:77
	ds_write2_b32 v46, v95, v11 offset0:154 offset1:231
	ds_write_b32 v46, v90 offset:1232
	ds_write2_b32 v47, v63, v100 offset1:77
	ds_write2_b32 v47, v102, v8 offset0:154 offset1:231
	ds_write_b32 v47, v97 offset:1232
	ds_write2_b32 v49, v67, v108 offset0:4 offset1:81
	ds_write2_b32 v49, v110, v9 offset0:158 offset1:235
	ds_write_b32 v48, v105 offset:7392
	s_waitcnt lgkmcnt(0)
	; wave barrier
	s_waitcnt lgkmcnt(0)
	ds_read2_b32 v[62:63], v119 offset1:55
	ds_read2_b32 v[66:67], v66 offset0:129 offset1:184
	ds_read2_b32 v[6:7], v72 offset0:75 offset1:130
	;; [unrolled: 1-line block ×6, first 2 shown]
	ds_read_b32 v52, v119 offset:440
	ds_read2_b32 v[50:51], v76 offset0:111 offset1:166
	ds_read2_b32 v[42:43], v75 offset0:113 offset1:168
	;; [unrolled: 1-line block ×10, first 2 shown]
	v_add_f32_e32 v34, v34, v156
	v_add_f32_e32 v34, v34, v157
	;; [unrolled: 1-line block ×7, first 2 shown]
	s_waitcnt lgkmcnt(0)
	; wave barrier
	s_waitcnt lgkmcnt(0)
	ds_write2_b32 v119, v34, v36 offset1:77
	ds_write2_b32 v119, v37, v22 offset0:154 offset1:231
	ds_write_b32 v119, v35 offset:1232
	ds_write2_b32 v0, v38, v41 offset1:77
	ds_write2_b32 v0, v78, v23 offset0:154 offset1:231
	ds_write_b32 v0, v39 offset:1232
	;; [unrolled: 3-line block ×3, first 2 shown]
	ds_write2_b32 v45, v84, v89 offset0:2 offset1:79
	ds_write2_b32 v45, v91, v24 offset0:156 offset1:233
	ds_write_b32 v44, v88 offset:4312
	ds_write2_b32 v46, v92, v96 offset1:77
	ds_write2_b32 v46, v98, v25 offset0:154 offset1:231
	ds_write_b32 v46, v94 offset:1232
	ds_write2_b32 v47, v99, v103 offset1:77
	ds_write2_b32 v47, v106, v26 offset0:154 offset1:231
	ds_write_b32 v47, v101 offset:1232
	ds_write2_b32 v49, v107, v111 offset0:4 offset1:81
	ds_write2_b32 v49, v112, v27 offset0:158 offset1:235
	ds_write_b32 v48, v109 offset:7392
	s_waitcnt lgkmcnt(0)
	; wave barrier
	s_waitcnt lgkmcnt(0)
	s_and_saveexec_b64 s[0:1], vcc
	s_cbranch_execz .LBB0_23
; %bb.22:
	global_load_dwordx4 v[88:91], v[20:21], off offset:3024
	global_load_dwordx4 v[92:95], v[20:21], off offset:3040
	v_lshlrev_b32_e32 v0, 2, v57
	v_mul_lo_u32 v20, s3, v4
	v_mul_lo_u32 v5, s2, v5
	v_mad_u64_u32 v[70:71], s[0:1], s2, v4, 0
	v_add_u32_e32 v4, 0xa00, v119
	v_add_u32_e32 v48, 0x1000, v119
	;; [unrolled: 1-line block ×11, first 2 shown]
	v_lshl_add_u64 v[36:37], v[0:1], 3, s[4:5]
	v_lshlrev_b32_e32 v0, 2, v56
	v_add_u32_e32 v59, 0x1800, v119
	ds_read2_b32 v[40:41], v53 offset0:165 offset1:220
	ds_read_b32 v53, v119 offset:440
	ds_read2_b32 v[74:75], v119 offset1:55
	v_add3_u32 v71, v71, v5, v20
	ds_read2_b32 v[22:23], v4 offset0:75 offset1:130
	ds_read2_b32 v[26:27], v48 offset0:21 offset1:76
	;; [unrolled: 1-line block ×15, first 2 shown]
	v_lshl_add_u64 v[48:49], v[0:1], 3, s[4:5]
	v_lshlrev_b32_e32 v0, 2, v58
	v_lshl_add_u64 v[70:71], v[70:71], 3, s[10:11]
	v_lshl_add_u64 v[58:59], v[0:1], 3, s[4:5]
	v_lshlrev_b32_e32 v0, 2, v104
	v_lshl_add_u64 v[2:3], v[2:3], 3, v[70:71]
	;; [unrolled: 3-line block ×3, first 2 shown]
	v_lshlrev_b32_e32 v0, 2, v86
	v_lshl_add_u64 v[104:105], v[0:1], 3, s[4:5]
	global_load_dwordx4 v[84:87], v[104:105], off offset:3040
	global_load_dwordx4 v[96:99], v[104:105], off offset:3024
	s_waitcnt lgkmcnt(14)
	v_mov_b32_e32 v110, v23
	s_mov_b32 s0, 0x551c979b
	v_mov_b32_e32 v100, v7
	v_mov_b32_e32 v102, v7
	v_mul_hi_u32 v7, v118, s0
	v_lshrrev_b32_e32 v7, 7, v7
	s_waitcnt lgkmcnt(11)
	v_mov_b32_e32 v112, v25
	v_mov_b32_e32 v106, v9
	;; [unrolled: 1-line block ×3, first 2 shown]
	v_mul_u32_u24_e32 v7, 0x181, v7
	v_sub_u32_e32 v7, v118, v7
	v_lshlrev_b32_e32 v0, 3, v7
	v_lshl_add_u64 v[114:115], v[2:3], 0, v[0:1]
	s_movk_i32 s1, 0x1000
	v_add_u32_e32 v0, 55, v118
	v_mul_hi_u32 v7, v0, s0
	v_lshrrev_b32_e32 v7, 7, v7
	v_mul_u32_u24_e32 v9, 0x181, v7
	v_sub_u32_e32 v0, v0, v9
	s_waitcnt vmcnt(3)
	v_pk_mul_f32 v[104:105], v[90:91], v[110:111] op_sel_hi:[1,0]
	s_waitcnt lgkmcnt(1)
	v_pk_mul_f32 v[110:111], v[88:89], v[78:79] op_sel_hi:[1,0]
	v_pk_fma_f32 v[100:101], v[100:101], v[90:91], v[104:105] op_sel:[0,0,1] op_sel_hi:[1,1,0] neg_lo:[0,0,1] neg_hi:[0,0,1]
	v_pk_fma_f32 v[90:91], v[102:103], v[90:91], v[104:105] op_sel:[0,0,1] op_sel_hi:[0,1,0]
	v_pk_fma_f32 v[102:103], v[66:67], v[88:89], v[110:111] op_sel:[0,0,1] op_sel_hi:[1,1,0] neg_lo:[0,0,1] neg_hi:[0,0,1]
	v_pk_fma_f32 v[88:89], v[66:67], v[88:89], v[110:111] op_sel:[0,0,1] op_sel_hi:[0,1,0]
	s_waitcnt vmcnt(2) lgkmcnt(0)
	v_pk_mul_f32 v[116:117], v[92:93], v[80:81] op_sel_hi:[1,0]
	v_mov_b32_e32 v103, v89
	v_mov_b32_e32 v88, v62
	;; [unrolled: 1-line block ×3, first 2 shown]
	v_pk_mul_f32 v[112:113], v[94:95], v[112:113] op_sel_hi:[1,0]
	v_pk_fma_f32 v[104:105], v[72:73], v[92:93], v[116:117] op_sel:[0,0,1] op_sel_hi:[1,1,0] neg_lo:[0,0,1] neg_hi:[0,0,1]
	v_pk_fma_f32 v[92:93], v[72:73], v[92:93], v[116:117] op_sel:[0,0,1] op_sel_hi:[0,1,0]
	v_mov_b32_e32 v101, v91
	v_pk_add_f32 v[90:91], v[88:89], v[102:103]
	v_pk_fma_f32 v[106:107], v[106:107], v[94:95], v[112:113] op_sel:[0,0,1] op_sel_hi:[1,1,0] neg_lo:[0,0,1] neg_hi:[0,0,1]
	v_pk_fma_f32 v[94:95], v[108:109], v[94:95], v[112:113] op_sel:[0,0,1] op_sel_hi:[0,1,0]
	v_mov_b32_e32 v105, v93
	v_pk_add_f32 v[90:91], v[90:91], v[100:101]
	v_mov_b32_e32 v107, v95
	v_pk_add_f32 v[90:91], v[90:91], v[104:105]
	v_pk_add_f32 v[92:93], v[102:103], v[106:107] neg_lo:[0,1] neg_hi:[0,1]
	v_pk_add_f32 v[90:91], v[106:107], v[90:91]
	global_store_dwordx2 v[114:115], v[90:91], off
	v_pk_add_f32 v[90:91], v[100:101], v[104:105]
	v_pk_add_f32 v[108:109], v[100:101], v[104:105] neg_lo:[0,1] neg_hi:[0,1]
	v_pk_add_f32 v[112:113], v[102:103], v[100:101] neg_lo:[0,1] neg_hi:[0,1]
	;; [unrolled: 1-line block ×3, first 2 shown]
	v_pk_add_f32 v[102:103], v[102:103], v[106:107]
	v_pk_fma_f32 v[90:91], v[90:91], 0.5, v[88:89] op_sel_hi:[1,0,1] neg_lo:[1,0,0] neg_hi:[1,0,0]
	v_pk_add_f32 v[116:117], v[106:107], v[104:105] neg_lo:[0,1] neg_hi:[0,1]
	v_pk_add_f32 v[104:105], v[104:105], v[106:107] neg_lo:[0,1] neg_hi:[0,1]
	v_pk_fma_f32 v[88:89], v[102:103], 0.5, v[88:89] op_sel_hi:[1,0,1] neg_lo:[1,0,0] neg_hi:[1,0,0]
	v_pk_mul_f32 v[102:103], v[108:109], s[6:7] op_sel_hi:[1,0]
	v_pk_mul_f32 v[94:95], v[92:93], s[6:7] op_sel_hi:[1,0]
	v_pk_add_f32 v[100:101], v[100:101], v[104:105]
	v_pk_mul_f32 v[92:93], v[92:93], s[8:9] op_sel_hi:[1,0]
	v_pk_add_f32 v[104:105], v[88:89], v[102:103] op_sel:[0,1] op_sel_hi:[1,0] neg_lo:[0,1] neg_hi:[0,1]
	v_pk_add_f32 v[88:89], v[88:89], v[102:103] op_sel:[0,1] op_sel_hi:[1,0]
	v_pk_mul_f32 v[110:111], v[108:109], s[8:9] op_sel_hi:[1,0]
	v_pk_add_f32 v[88:89], v[88:89], v[92:93] op_sel:[0,1] op_sel_hi:[1,0] neg_lo:[0,1] neg_hi:[0,1]
	v_pk_add_f32 v[92:93], v[104:105], v[92:93] op_sel:[0,1] op_sel_hi:[1,0]
	v_add_co_u32_e32 v104, vcc, s1, v114
	v_pk_add_f32 v[112:113], v[112:113], v[116:117]
	v_pk_add_f32 v[116:117], v[90:91], v[94:95] op_sel:[0,1] op_sel_hi:[1,0]
	v_pk_add_f32 v[90:91], v[90:91], v[94:95] op_sel:[0,1] op_sel_hi:[1,0] neg_lo:[0,1] neg_hi:[0,1]
	v_addc_co_u32_e32 v105, vcc, 0, v115, vcc
	s_movk_i32 s1, 0x2000
	v_pk_add_f32 v[90:91], v[90:91], v[110:111] op_sel:[0,1] op_sel_hi:[1,0] neg_lo:[0,1] neg_hi:[0,1]
	v_pk_add_f32 v[94:95], v[116:117], v[110:111] op_sel:[0,1] op_sel_hi:[1,0]
	v_mov_b32_e32 v102, v92
	v_mov_b32_e32 v103, v89
	;; [unrolled: 1-line block ×3, first 2 shown]
	v_add_co_u32_e32 v92, vcc, s1, v114
	v_mov_b32_e32 v111, v91
	v_pk_fma_f32 v[88:89], v[100:101], s[12:13], v[88:89] op_sel_hi:[1,0,1]
	v_addc_co_u32_e32 v93, vcc, 0, v115, vcc
	v_mov_b32_e32 v91, v95
	s_movk_i32 s1, 0x3000
	global_store_dwordx2 v[92:93], v[88:89], off offset:1048
	v_pk_fma_f32 v[88:89], v[112:113], s[12:13], v[90:91] op_sel_hi:[1,0,1]
	v_add_co_u32_e32 v90, vcc, s1, v114
	s_movk_i32 s1, 0x785
	s_nop 0
	v_addc_co_u32_e32 v91, vcc, 0, v115, vcc
	v_mad_u32_u24 v0, v7, s1, v0
	v_pk_fma_f32 v[102:103], v[100:101], s[12:13], v[102:103] op_sel_hi:[1,0,1]
	global_store_dwordx2 v[90:91], v[88:89], off offset:32
	v_add_u32_e32 v88, 0x181, v0
	v_mov_b32_e32 v89, v1
	global_store_dwordx2 v[104:105], v[102:103], off offset:2064
	v_lshl_add_u64 v[102:103], v[88:89], 3, v[2:3]
	v_add_u32_e32 v88, 0x302, v0
	v_mov_b32_e32 v110, v94
	v_lshl_add_u64 v[104:105], v[88:89], 3, v[2:3]
	v_add_u32_e32 v88, 0x483, v0
	v_pk_fma_f32 v[110:111], v[112:113], s[12:13], v[110:111] op_sel_hi:[1,0,1]
	v_lshl_add_u64 v[106:107], v[88:89], 3, v[2:3]
	s_waitcnt vmcnt(4)
	v_pk_mul_f32 v[88:89], v[98:99], v[76:77] op_sel_hi:[1,0]
	global_store_dwordx2 v[114:115], v[110:111], off offset:3080
	v_pk_fma_f32 v[110:111], v[60:61], v[98:99], v[88:89] op_sel:[0,0,1] op_sel_hi:[1,1,0] neg_lo:[0,0,1] neg_hi:[0,0,1]
	v_pk_fma_f32 v[88:89], v[60:61], v[98:99], v[88:89] op_sel:[0,0,1] op_sel_hi:[0,1,0]
	v_mov_b32_e32 v111, v89
	global_load_dwordx4 v[88:91], v[82:83], off offset:3040
	global_load_dwordx4 v[92:95], v[82:83], off offset:3024
	v_lshl_add_u64 v[100:101], v[0:1], 3, v[2:3]
	v_add_u32_e32 v0, 0x604, v0
	v_mov_b32_e32 v62, v81
	v_lshl_add_u64 v[108:109], v[0:1], 3, v[2:3]
	v_mov_b32_e32 v0, v73
	v_mov_b32_e32 v60, v73
	v_pk_mul_f32 v[72:73], v[84:85], v[62:63] op_sel_hi:[1,0]
	v_mov_b32_e32 v62, v79
	v_pk_fma_f32 v[80:81], v[0:1], v[84:85], v[72:73] op_sel:[0,0,1] op_sel_hi:[1,1,0] neg_lo:[0,0,1] neg_hi:[0,0,1]
	v_pk_fma_f32 v[72:73], v[60:61], v[84:85], v[72:73] op_sel:[0,0,1] op_sel_hi:[0,1,0]
	v_mov_b32_e32 v0, v67
	v_mov_b32_e32 v60, v67
	v_pk_mul_f32 v[66:67], v[96:97], v[62:63] op_sel_hi:[1,0]
	v_mov_b32_e32 v81, v73
	v_pk_fma_f32 v[72:73], v[0:1], v[96:97], v[66:67] op_sel:[0,0,1] op_sel_hi:[1,1,0] neg_lo:[0,0,1] neg_hi:[0,0,1]
	v_pk_fma_f32 v[66:67], v[60:61], v[96:97], v[66:67] op_sel:[0,0,1] op_sel_hi:[0,1,0]
	v_mov_b32_e32 v73, v67
	v_pk_mul_f32 v[66:67], v[86:87], v[68:69] op_sel_hi:[1,0]
	v_mov_b32_e32 v74, v63
	v_pk_fma_f32 v[78:79], v[54:55], v[86:87], v[66:67] op_sel:[0,0,1] op_sel_hi:[1,1,0] neg_lo:[0,0,1] neg_hi:[0,0,1]
	v_pk_fma_f32 v[66:67], v[54:55], v[86:87], v[66:67] op_sel:[0,0,1] op_sel_hi:[0,1,0]
	v_mov_b32_e32 v79, v67
	v_pk_add_f32 v[66:67], v[72:73], v[110:111] neg_lo:[0,1] neg_hi:[0,1]
	v_pk_add_f32 v[82:83], v[78:79], v[80:81] neg_lo:[0,1] neg_hi:[0,1]
	;; [unrolled: 1-line block ×3, first 2 shown]
	v_pk_add_f32 v[66:67], v[66:67], v[82:83]
	v_pk_add_f32 v[82:83], v[110:111], v[80:81]
	v_add_u32_e32 v0, 0x6e, v118
	v_pk_fma_f32 v[62:63], v[82:83], 0.5, v[74:75] op_sel_hi:[1,0,1] neg_lo:[1,0,0] neg_hi:[1,0,0]
	v_pk_add_f32 v[82:83], v[72:73], v[78:79] neg_lo:[0,1] neg_hi:[0,1]
	v_mul_hi_u32 v7, v0, s0
	v_pk_fma_f32 v[84:85], v[82:83], s[6:7], v[62:63] op_sel:[1,0,0] op_sel_hi:[0,0,1] neg_lo:[1,0,0] neg_hi:[1,0,0]
	v_pk_fma_f32 v[62:63], v[82:83], s[6:7], v[62:63] op_sel:[1,0,0] op_sel_hi:[0,0,1]
	v_pk_fma_f32 v[62:63], v[86:87], s[8:9], v[62:63] op_sel:[1,0,0] op_sel_hi:[0,0,1]
	v_pk_fma_f32 v[84:85], v[86:87], s[8:9], v[84:85] op_sel:[1,0,0] op_sel_hi:[0,0,1] neg_lo:[1,0,0] neg_hi:[1,0,0]
	v_mov_b32_e32 v97, v63
	v_mov_b32_e32 v63, v85
	;; [unrolled: 1-line block ×3, first 2 shown]
	v_pk_fma_f32 v[62:63], v[66:67], s[12:13], v[62:63] op_sel_hi:[1,0,1]
	v_pk_fma_f32 v[96:97], v[66:67], s[12:13], v[96:97] op_sel_hi:[1,0,1]
	global_store_dwordx2 v[102:103], v[62:63], off
	v_pk_add_f32 v[62:63], v[110:111], v[72:73] neg_lo:[0,1] neg_hi:[0,1]
	v_pk_add_f32 v[66:67], v[80:81], v[78:79] neg_lo:[0,1] neg_hi:[0,1]
	v_pk_add_f32 v[98:99], v[74:75], v[72:73]
	v_pk_add_f32 v[62:63], v[62:63], v[66:67]
	;; [unrolled: 1-line block ×3, first 2 shown]
	v_lshrrev_b32_e32 v7, 7, v7
	v_pk_fma_f32 v[66:67], v[66:67], 0.5, v[74:75] op_sel_hi:[1,0,1] neg_lo:[1,0,0] neg_hi:[1,0,0]
	v_pk_add_f32 v[98:99], v[98:99], v[110:111]
	v_pk_fma_f32 v[72:73], v[86:87], s[6:7], v[66:67] op_sel:[1,0,0] op_sel_hi:[0,0,1]
	v_pk_fma_f32 v[66:67], v[86:87], s[6:7], v[66:67] op_sel:[1,0,0] op_sel_hi:[0,0,1] neg_lo:[1,0,0] neg_hi:[1,0,0]
	v_pk_fma_f32 v[66:67], v[82:83], s[8:9], v[66:67] op_sel:[1,0,0] op_sel_hi:[0,0,1]
	v_pk_fma_f32 v[72:73], v[82:83], s[8:9], v[72:73] op_sel:[1,0,0] op_sel_hi:[0,0,1] neg_lo:[1,0,0] neg_hi:[1,0,0]
	v_mul_u32_u24_e32 v9, 0x181, v7
	v_pk_add_f32 v[98:99], v[98:99], v[80:81]
	v_mov_b32_e32 v74, v72
	v_mov_b32_e32 v75, v67
	;; [unrolled: 1-line block ×3, first 2 shown]
	v_sub_u32_e32 v0, v0, v9
	v_pk_add_f32 v[98:99], v[78:79], v[98:99]
	v_pk_fma_f32 v[74:75], v[62:63], s[12:13], v[74:75] op_sel_hi:[1,0,1]
	v_pk_fma_f32 v[62:63], v[62:63], s[12:13], v[66:67] op_sel_hi:[1,0,1]
	v_mad_u32_u24 v0, v7, s1, v0
	global_store_dwordx2 v[100:101], v[98:99], off
	global_store_dwordx2 v[104:105], v[62:63], off
	;; [unrolled: 1-line block ×4, first 2 shown]
	v_add_u32_e32 v62, 0x181, v0
	v_mov_b32_e32 v63, v1
	v_lshl_add_u64 v[78:79], v[62:63], 3, v[2:3]
	v_add_u32_e32 v62, 0x302, v0
	v_lshl_add_u64 v[66:67], v[0:1], 3, v[2:3]
	v_lshl_add_u64 v[80:81], v[62:63], 3, v[2:3]
	v_add_u32_e32 v62, 0x483, v0
	v_add_u32_e32 v0, 0x604, v0
	v_lshl_add_u64 v[82:83], v[62:63], 3, v[2:3]
	v_lshl_add_u64 v[84:85], v[0:1], 3, v[2:3]
	v_mov_b32_e32 v0, v61
	v_mov_b32_e32 v54, v61
	global_load_dwordx4 v[60:63], v[70:71], off offset:3040
	global_load_dwordx4 v[72:75], v[70:71], off offset:3024
	v_mov_b32_e32 v68, v77
	s_waitcnt vmcnt(7)
	v_pk_mul_f32 v[70:71], v[94:95], v[68:69] op_sel_hi:[1,0]
	s_nop 0
	v_pk_fma_f32 v[76:77], v[0:1], v[94:95], v[70:71] op_sel:[0,0,1] op_sel_hi:[1,1,0] neg_lo:[0,0,1] neg_hi:[0,0,1]
	v_pk_fma_f32 v[70:71], v[54:55], v[94:95], v[70:71] op_sel:[0,0,1] op_sel_hi:[0,1,0]
	v_mov_b32_e32 v77, v71
	v_pk_mul_f32 v[70:71], v[88:89], v[56:57] op_sel_hi:[1,0]
	v_mov_b32_e32 v0, v55
	v_pk_fma_f32 v[86:87], v[42:43], v[88:89], v[70:71] op_sel:[0,0,1] op_sel_hi:[1,1,0] neg_lo:[0,0,1] neg_hi:[0,0,1]
	v_pk_fma_f32 v[70:71], v[42:43], v[88:89], v[70:71] op_sel:[0,0,1] op_sel_hi:[0,1,0]
	v_mov_b32_e32 v87, v71
	v_pk_mul_f32 v[70:71], v[92:93], v[64:65] op_sel_hi:[1,0]
	v_mov_b32_e32 v42, v55
	v_pk_fma_f32 v[88:89], v[50:51], v[92:93], v[70:71] op_sel:[0,0,1] op_sel_hi:[1,1,0] neg_lo:[0,0,1] neg_hi:[0,0,1]
	v_pk_fma_f32 v[70:71], v[50:51], v[92:93], v[70:71] op_sel:[0,0,1] op_sel_hi:[0,1,0]
	v_mov_b32_e32 v50, v69
	v_pk_mul_f32 v[54:55], v[90:91], v[50:51] op_sel_hi:[1,0]
	v_mov_b32_e32 v89, v71
	v_pk_fma_f32 v[68:69], v[0:1], v[90:91], v[54:55] op_sel:[0,0,1] op_sel_hi:[1,1,0] neg_lo:[0,0,1] neg_hi:[0,0,1]
	v_pk_fma_f32 v[54:55], v[42:43], v[90:91], v[54:55] op_sel:[0,0,1] op_sel_hi:[0,1,0]
	v_mov_b32_e32 v69, v55
	v_pk_add_f32 v[54:55], v[88:89], v[76:77] neg_lo:[0,1] neg_hi:[0,1]
	v_pk_add_f32 v[70:71], v[68:69], v[86:87] neg_lo:[0,1] neg_hi:[0,1]
	;; [unrolled: 1-line block ×3, first 2 shown]
	v_pk_add_f32 v[54:55], v[54:55], v[70:71]
	v_pk_add_f32 v[70:71], v[76:77], v[86:87]
	v_pk_add_f32 v[94:95], v[76:77], v[86:87] neg_lo:[0,1] neg_hi:[0,1]
	v_pk_fma_f32 v[70:71], v[70:71], 0.5, v[52:53] op_sel_hi:[1,0,1] neg_lo:[1,0,0] neg_hi:[1,0,0]
	v_pk_add_f32 v[98:99], v[52:53], v[88:89]
	v_pk_fma_f32 v[92:93], v[90:91], s[6:7], v[70:71] op_sel:[1,0,0] op_sel_hi:[0,0,1] neg_lo:[1,0,0] neg_hi:[1,0,0]
	v_pk_fma_f32 v[70:71], v[90:91], s[6:7], v[70:71] op_sel:[1,0,0] op_sel_hi:[0,0,1]
	v_pk_fma_f32 v[70:71], v[94:95], s[8:9], v[70:71] op_sel:[1,0,0] op_sel_hi:[0,0,1]
	v_pk_fma_f32 v[92:93], v[94:95], s[8:9], v[92:93] op_sel:[1,0,0] op_sel_hi:[0,0,1] neg_lo:[1,0,0] neg_hi:[1,0,0]
	v_pk_add_f32 v[98:99], v[98:99], v[76:77]
	v_mov_b32_e32 v96, v92
	v_mov_b32_e32 v97, v71
	v_pk_add_f32 v[98:99], v[98:99], v[86:87]
	v_mov_b32_e32 v71, v93
	v_pk_fma_f32 v[96:97], v[54:55], s[12:13], v[96:97] op_sel_hi:[1,0,1]
	v_pk_add_f32 v[98:99], v[68:69], v[98:99]
	v_pk_fma_f32 v[54:55], v[54:55], s[12:13], v[70:71] op_sel_hi:[1,0,1]
	global_store_dwordx2 v[66:67], v[98:99], off
	global_store_dwordx2 v[78:79], v[54:55], off
	v_pk_add_f32 v[54:55], v[76:77], v[88:89] neg_lo:[0,1] neg_hi:[0,1]
	v_pk_add_f32 v[66:67], v[86:87], v[68:69] neg_lo:[0,1] neg_hi:[0,1]
	v_add_u32_e32 v0, 0xa5, v118
	v_pk_add_f32 v[54:55], v[54:55], v[66:67]
	v_pk_add_f32 v[66:67], v[88:89], v[68:69]
	v_mul_hi_u32 v7, v0, s0
	v_pk_fma_f32 v[52:53], v[66:67], 0.5, v[52:53] op_sel_hi:[1,0,1] neg_lo:[1,0,0] neg_hi:[1,0,0]
	v_lshrrev_b32_e32 v7, 7, v7
	v_pk_fma_f32 v[66:67], v[94:95], s[6:7], v[52:53] op_sel:[1,0,0] op_sel_hi:[0,0,1]
	v_pk_fma_f32 v[52:53], v[94:95], s[6:7], v[52:53] op_sel:[1,0,0] op_sel_hi:[0,0,1] neg_lo:[1,0,0] neg_hi:[1,0,0]
	v_pk_fma_f32 v[52:53], v[90:91], s[8:9], v[52:53] op_sel:[1,0,0] op_sel_hi:[0,0,1]
	v_pk_fma_f32 v[66:67], v[90:91], s[8:9], v[66:67] op_sel:[1,0,0] op_sel_hi:[0,0,1] neg_lo:[1,0,0] neg_hi:[1,0,0]
	v_mul_u32_u24_e32 v9, 0x181, v7
	v_mov_b32_e32 v69, v53
	v_mov_b32_e32 v53, v67
	v_sub_u32_e32 v0, v0, v9
	v_mov_b32_e32 v68, v66
	v_pk_fma_f32 v[52:53], v[54:55], s[12:13], v[52:53] op_sel_hi:[1,0,1]
	v_mad_u32_u24 v0, v7, s1, v0
	v_pk_fma_f32 v[68:69], v[54:55], s[12:13], v[68:69] op_sel_hi:[1,0,1]
	global_store_dwordx2 v[80:81], v[52:53], off
	global_store_dwordx2 v[82:83], v[68:69], off
	;; [unrolled: 1-line block ×3, first 2 shown]
	v_add_u32_e32 v52, 0x181, v0
	v_mov_b32_e32 v53, v1
	v_lshl_add_u64 v[68:69], v[52:53], 3, v[2:3]
	v_add_u32_e32 v52, 0x302, v0
	v_lshl_add_u64 v[54:55], v[0:1], 3, v[2:3]
	v_lshl_add_u64 v[70:71], v[52:53], 3, v[2:3]
	v_add_u32_e32 v52, 0x483, v0
	v_add_u32_e32 v0, 0x604, v0
	v_mov_b32_e32 v50, v65
	v_lshl_add_u64 v[78:79], v[0:1], 3, v[2:3]
	v_mov_b32_e32 v0, v51
	v_mov_b32_e32 v42, v51
	v_lshl_add_u64 v[76:77], v[52:53], 3, v[2:3]
	s_waitcnt vmcnt(5)
	v_pk_mul_f32 v[50:51], v[72:73], v[50:51] op_sel_hi:[1,0]
	s_nop 0
	v_pk_fma_f32 v[80:81], v[0:1], v[72:73], v[50:51] op_sel:[0,0,1] op_sel_hi:[1,1,0] neg_lo:[0,0,1] neg_hi:[0,0,1]
	v_pk_fma_f32 v[50:51], v[42:43], v[72:73], v[50:51] op_sel:[0,0,1] op_sel_hi:[0,1,0]
	v_mov_b32_e32 v81, v51
	global_load_dwordx4 v[50:53], v[58:59], off offset:3040
	global_load_dwordx4 v[64:67], v[58:59], off offset:3024
	v_pk_mul_f32 v[58:59], v[74:75], v[46:47] op_sel_hi:[1,0]
	v_mov_b32_e32 v0, v43
	v_pk_fma_f32 v[72:73], v[32:33], v[74:75], v[58:59] op_sel:[0,0,1] op_sel_hi:[1,1,0] neg_lo:[0,0,1] neg_hi:[0,0,1]
	v_pk_fma_f32 v[58:59], v[32:33], v[74:75], v[58:59] op_sel:[0,0,1] op_sel_hi:[0,1,0]
	v_mov_b32_e32 v73, v59
	v_pk_mul_f32 v[58:59], v[62:63], v[44:45] op_sel_hi:[1,0]
	v_mov_b32_e32 v32, v57
	v_pk_fma_f32 v[74:75], v[30:31], v[62:63], v[58:59] op_sel:[0,0,1] op_sel_hi:[1,1,0] neg_lo:[0,0,1] neg_hi:[0,0,1]
	v_pk_fma_f32 v[58:59], v[30:31], v[62:63], v[58:59] op_sel:[0,0,1] op_sel_hi:[0,1,0]
	v_mov_b32_e32 v30, v43
	;; [unrolled: 5-line block ×3, first 2 shown]
	v_pk_add_f32 v[60:61], v[72:73], v[56:57]
	v_mov_b32_e32 v62, v28
	v_mov_b32_e32 v63, v40
	v_pk_add_f32 v[42:43], v[80:81], v[74:75] neg_lo:[0,1] neg_hi:[0,1]
	v_pk_fma_f32 v[60:61], v[60:61], 0.5, v[62:63] op_sel_hi:[1,0,1] neg_lo:[1,0,0] neg_hi:[1,0,0]
	v_pk_add_f32 v[82:83], v[80:81], v[72:73] neg_lo:[0,1] neg_hi:[0,1]
	v_pk_add_f32 v[84:85], v[74:75], v[56:57] neg_lo:[0,1] neg_hi:[0,1]
	v_pk_add_f32 v[88:89], v[62:63], v[80:81]
	v_pk_add_f32 v[58:59], v[72:73], v[56:57] neg_lo:[0,1] neg_hi:[0,1]
	v_pk_add_f32 v[82:83], v[82:83], v[84:85]
	v_pk_fma_f32 v[84:85], v[42:43], s[6:7], v[60:61] op_sel:[1,0,0] op_sel_hi:[0,0,1] neg_lo:[1,0,0] neg_hi:[1,0,0]
	v_pk_fma_f32 v[60:61], v[42:43], s[6:7], v[60:61] op_sel:[1,0,0] op_sel_hi:[0,0,1]
	v_pk_add_f32 v[88:89], v[72:73], v[88:89]
	v_pk_fma_f32 v[60:61], v[58:59], s[8:9], v[60:61] op_sel:[1,0,0] op_sel_hi:[0,0,1]
	v_pk_fma_f32 v[84:85], v[58:59], s[8:9], v[84:85] op_sel:[1,0,0] op_sel_hi:[0,0,1] neg_lo:[1,0,0] neg_hi:[1,0,0]
	v_pk_add_f32 v[88:89], v[88:89], v[56:57]
	v_mov_b32_e32 v87, v61
	v_pk_add_f32 v[88:89], v[88:89], v[74:75]
	v_mov_b32_e32 v61, v85
	global_store_dwordx2 v[54:55], v[88:89], off
	v_pk_fma_f32 v[54:55], v[82:83], s[12:13], v[60:61] op_sel_hi:[1,0,1]
	global_store_dwordx2 v[68:69], v[54:55], off
	v_pk_add_f32 v[54:55], v[72:73], v[80:81] neg_lo:[0,1] neg_hi:[0,1]
	v_pk_add_f32 v[56:57], v[56:57], v[74:75] neg_lo:[0,1] neg_hi:[0,1]
	v_add_u32_e32 v0, 0xdc, v118
	v_pk_add_f32 v[54:55], v[54:55], v[56:57]
	v_pk_add_f32 v[56:57], v[80:81], v[74:75]
	v_mul_hi_u32 v7, v0, s0
	v_pk_fma_f32 v[56:57], v[56:57], 0.5, v[62:63] op_sel_hi:[1,0,1] neg_lo:[1,0,0] neg_hi:[1,0,0]
	v_lshrrev_b32_e32 v7, 7, v7
	v_pk_fma_f32 v[60:61], v[58:59], s[6:7], v[56:57] op_sel:[1,0,0] op_sel_hi:[0,0,1]
	v_pk_fma_f32 v[56:57], v[58:59], s[6:7], v[56:57] op_sel:[1,0,0] op_sel_hi:[0,0,1] neg_lo:[1,0,0] neg_hi:[1,0,0]
	v_mul_u32_u24_e32 v9, 0x181, v7
	v_pk_fma_f32 v[56:57], v[42:43], s[8:9], v[56:57] op_sel:[1,0,0] op_sel_hi:[0,0,1]
	v_pk_fma_f32 v[42:43], v[42:43], s[8:9], v[60:61] op_sel:[1,0,0] op_sel_hi:[0,0,1] neg_lo:[1,0,0] neg_hi:[1,0,0]
	v_sub_u32_e32 v0, v0, v9
	v_mov_b32_e32 v58, v42
	v_mov_b32_e32 v59, v57
	;; [unrolled: 1-line block ×3, first 2 shown]
	v_mad_u32_u24 v0, v7, s1, v0
	v_pk_fma_f32 v[58:59], v[54:55], s[12:13], v[58:59] op_sel_hi:[1,0,1]
	v_pk_fma_f32 v[42:43], v[54:55], s[12:13], v[56:57] op_sel_hi:[1,0,1]
	v_add_u32_e32 v54, 0x181, v0
	v_mov_b32_e32 v55, v1
	v_mov_b32_e32 v86, v84
	v_lshl_add_u64 v[62:63], v[54:55], 3, v[2:3]
	v_add_u32_e32 v54, 0x302, v0
	v_pk_fma_f32 v[86:87], v[82:83], s[12:13], v[86:87] op_sel_hi:[1,0,1]
	global_store_dwordx2 v[70:71], v[42:43], off
	global_store_dwordx2 v[76:77], v[58:59], off
	;; [unrolled: 1-line block ×3, first 2 shown]
	v_lshl_add_u64 v[68:69], v[54:55], 3, v[2:3]
	v_add_u32_e32 v54, 0x483, v0
	v_lshl_add_u64 v[70:71], v[54:55], 3, v[2:3]
	global_load_dwordx4 v[54:57], v[48:49], off offset:3040
	global_load_dwordx4 v[58:61], v[48:49], off offset:3024
	v_lshl_add_u64 v[42:43], v[0:1], 3, v[2:3]
	v_add_u32_e32 v0, 0x604, v0
	v_mov_b32_e32 v30, v47
	v_lshl_add_u64 v[72:73], v[0:1], 3, v[2:3]
	v_mov_b32_e32 v0, v33
	v_mov_b32_e32 v28, v33
	;; [unrolled: 1-line block ×3, first 2 shown]
	s_waitcnt vmcnt(7)
	v_pk_mul_f32 v[32:33], v[66:67], v[30:31] op_sel_hi:[1,0]
	s_nop 0
	v_pk_fma_f32 v[46:47], v[0:1], v[66:67], v[32:33] op_sel:[0,0,1] op_sel_hi:[1,1,0] neg_lo:[0,0,1] neg_hi:[0,0,1]
	v_pk_fma_f32 v[32:33], v[28:29], v[66:67], v[32:33] op_sel:[0,0,1] op_sel_hi:[0,1,0]
	v_mov_b32_e32 v47, v33
	v_pk_mul_f32 v[32:33], v[50:51], v[38:39] op_sel_hi:[1,0]
	v_mov_b32_e32 v0, v31
	v_pk_fma_f32 v[48:49], v[18:19], v[50:51], v[32:33] op_sel:[0,0,1] op_sel_hi:[1,1,0] neg_lo:[0,0,1] neg_hi:[0,0,1]
	v_pk_fma_f32 v[32:33], v[18:19], v[50:51], v[32:33] op_sel:[0,0,1] op_sel_hi:[0,1,0]
	v_mov_b32_e32 v49, v33
	v_pk_mul_f32 v[32:33], v[64:65], v[34:35] op_sel_hi:[1,0]
	v_mov_b32_e32 v18, v45
	;; [unrolled: 5-line block ×3, first 2 shown]
	v_pk_fma_f32 v[32:33], v[0:1], v[52:53], v[30:31] op_sel:[0,0,1] op_sel_hi:[1,1,0] neg_lo:[0,0,1] neg_hi:[0,0,1]
	v_pk_fma_f32 v[30:31], v[16:17], v[52:53], v[30:31] op_sel:[0,0,1] op_sel_hi:[0,1,0]
	v_mov_b32_e32 v33, v31
	v_pk_add_f32 v[30:31], v[50:51], v[46:47] neg_lo:[0,1] neg_hi:[0,1]
	v_pk_add_f32 v[44:45], v[32:33], v[48:49] neg_lo:[0,1] neg_hi:[0,1]
	;; [unrolled: 1-line block ×3, first 2 shown]
	v_pk_add_f32 v[30:31], v[30:31], v[44:45]
	v_pk_add_f32 v[44:45], v[46:47], v[48:49]
	;; [unrolled: 1-line block ×3, first 2 shown]
	v_pk_fma_f32 v[28:29], v[44:45], 0.5, v[40:41] op_sel_hi:[1,0,1] neg_lo:[1,0,0] neg_hi:[1,0,0]
	v_pk_add_f32 v[44:45], v[50:51], v[32:33] neg_lo:[0,1] neg_hi:[0,1]
	v_pk_add_f32 v[74:75], v[74:75], v[46:47]
	v_pk_fma_f32 v[52:53], v[44:45], s[6:7], v[28:29] op_sel:[1,0,0] op_sel_hi:[0,0,1] neg_lo:[1,0,0] neg_hi:[1,0,0]
	v_pk_fma_f32 v[28:29], v[44:45], s[6:7], v[28:29] op_sel:[1,0,0] op_sel_hi:[0,0,1]
	v_pk_fma_f32 v[28:29], v[64:65], s[8:9], v[28:29] op_sel:[1,0,0] op_sel_hi:[0,0,1]
	v_pk_fma_f32 v[52:53], v[64:65], s[8:9], v[52:53] op_sel:[1,0,0] op_sel_hi:[0,0,1] neg_lo:[1,0,0] neg_hi:[1,0,0]
	v_mov_b32_e32 v67, v29
	v_mov_b32_e32 v29, v53
	;; [unrolled: 1-line block ×3, first 2 shown]
	v_pk_fma_f32 v[28:29], v[30:31], s[12:13], v[28:29] op_sel_hi:[1,0,1]
	v_pk_fma_f32 v[66:67], v[30:31], s[12:13], v[66:67] op_sel_hi:[1,0,1]
	global_store_dwordx2 v[62:63], v[28:29], off
	v_pk_add_f32 v[28:29], v[46:47], v[50:51] neg_lo:[0,1] neg_hi:[0,1]
	v_pk_add_f32 v[30:31], v[48:49], v[32:33] neg_lo:[0,1] neg_hi:[0,1]
	v_add_u32_e32 v0, 0x113, v118
	v_pk_add_f32 v[28:29], v[28:29], v[30:31]
	v_pk_add_f32 v[30:31], v[50:51], v[32:33]
	;; [unrolled: 1-line block ×3, first 2 shown]
	v_pk_fma_f32 v[30:31], v[30:31], 0.5, v[40:41] op_sel_hi:[1,0,1] neg_lo:[1,0,0] neg_hi:[1,0,0]
	v_mul_hi_u32 v7, v0, s0
	v_pk_add_f32 v[74:75], v[32:33], v[74:75]
	v_pk_fma_f32 v[32:33], v[64:65], s[6:7], v[30:31] op_sel:[1,0,0] op_sel_hi:[0,0,1]
	v_pk_fma_f32 v[30:31], v[64:65], s[6:7], v[30:31] op_sel:[1,0,0] op_sel_hi:[0,0,1] neg_lo:[1,0,0] neg_hi:[1,0,0]
	v_lshrrev_b32_e32 v7, 7, v7
	v_pk_fma_f32 v[30:31], v[44:45], s[8:9], v[30:31] op_sel:[1,0,0] op_sel_hi:[0,0,1]
	v_pk_fma_f32 v[32:33], v[44:45], s[8:9], v[32:33] op_sel:[1,0,0] op_sel_hi:[0,0,1] neg_lo:[1,0,0] neg_hi:[1,0,0]
	v_mul_u32_u24_e32 v9, 0x181, v7
	v_mov_b32_e32 v40, v32
	v_mov_b32_e32 v41, v31
	;; [unrolled: 1-line block ×3, first 2 shown]
	v_sub_u32_e32 v0, v0, v9
	v_pk_fma_f32 v[40:41], v[28:29], s[12:13], v[40:41] op_sel_hi:[1,0,1]
	v_pk_fma_f32 v[28:29], v[28:29], s[12:13], v[30:31] op_sel_hi:[1,0,1]
	v_mad_u32_u24 v0, v7, s1, v0
	global_store_dwordx2 v[42:43], v[74:75], off
	global_store_dwordx2 v[68:69], v[28:29], off
	;; [unrolled: 1-line block ×4, first 2 shown]
	v_add_u32_e32 v28, 0x181, v0
	v_mov_b32_e32 v29, v1
	v_lshl_add_u64 v[44:45], v[28:29], 3, v[2:3]
	v_add_u32_e32 v28, 0x302, v0
	v_lshl_add_u64 v[46:47], v[28:29], 3, v[2:3]
	v_add_u32_e32 v28, 0x483, v0
	v_lshl_add_u64 v[48:49], v[28:29], 3, v[2:3]
	s_waitcnt vmcnt(5)
	v_pk_mul_f32 v[28:29], v[60:61], v[26:27] op_sel_hi:[1,0]
	v_lshl_add_u64 v[32:33], v[0:1], 3, v[2:3]
	v_pk_fma_f32 v[52:53], v[14:15], v[60:61], v[28:29] op_sel:[0,0,1] op_sel_hi:[1,1,0] neg_lo:[0,0,1] neg_hi:[0,0,1]
	v_pk_fma_f32 v[28:29], v[14:15], v[60:61], v[28:29] op_sel:[0,0,1] op_sel_hi:[0,1,0]
	v_mov_b32_e32 v53, v29
	global_load_dwordx4 v[28:31], v[36:37], off offset:3040
	global_load_dwordx4 v[40:43], v[36:37], off offset:3024
	v_add_u32_e32 v0, 0x604, v0
	v_mov_b32_e32 v16, v39
	v_lshl_add_u64 v[50:51], v[0:1], 3, v[2:3]
	v_mov_b32_e32 v0, v19
	v_mov_b32_e32 v14, v19
	v_pk_mul_f32 v[18:19], v[54:55], v[16:17] op_sel_hi:[1,0]
	v_mov_b32_e32 v16, v35
	v_pk_fma_f32 v[36:37], v[0:1], v[54:55], v[18:19] op_sel:[0,0,1] op_sel_hi:[1,1,0] neg_lo:[0,0,1] neg_hi:[0,0,1]
	v_pk_fma_f32 v[18:19], v[14:15], v[54:55], v[18:19] op_sel:[0,0,1] op_sel_hi:[0,1,0]
	v_mov_b32_e32 v0, v17
	v_mov_b32_e32 v14, v17
	v_pk_mul_f32 v[16:17], v[58:59], v[16:17] op_sel_hi:[1,0]
	v_mov_b32_e32 v37, v19
	v_pk_fma_f32 v[18:19], v[0:1], v[58:59], v[16:17] op_sel:[0,0,1] op_sel_hi:[1,1,0] neg_lo:[0,0,1] neg_hi:[0,0,1]
	v_pk_fma_f32 v[16:17], v[14:15], v[58:59], v[16:17] op_sel:[0,0,1] op_sel_hi:[0,1,0]
	v_mov_b32_e32 v19, v17
	v_pk_mul_f32 v[16:17], v[56:57], v[20:21] op_sel_hi:[1,0]
	v_mov_b32_e32 v54, v10
	v_pk_fma_f32 v[34:35], v[12:13], v[56:57], v[16:17] op_sel:[0,0,1] op_sel_hi:[1,1,0] neg_lo:[0,0,1] neg_hi:[0,0,1]
	v_pk_fma_f32 v[16:17], v[12:13], v[56:57], v[16:17] op_sel:[0,0,1] op_sel_hi:[0,1,0]
	v_mov_b32_e32 v35, v17
	v_pk_add_f32 v[16:17], v[18:19], v[52:53] neg_lo:[0,1] neg_hi:[0,1]
	v_pk_add_f32 v[38:39], v[34:35], v[36:37] neg_lo:[0,1] neg_hi:[0,1]
	v_mov_b32_e32 v55, v4
	v_pk_add_f32 v[16:17], v[16:17], v[38:39]
	v_pk_add_f32 v[38:39], v[52:53], v[36:37]
	v_pk_add_f32 v[56:57], v[18:19], v[34:35] neg_lo:[0,1] neg_hi:[0,1]
	v_pk_fma_f32 v[38:39], v[38:39], 0.5, v[54:55] op_sel_hi:[1,0,1] neg_lo:[1,0,0] neg_hi:[1,0,0]
	v_pk_add_f32 v[60:61], v[52:53], v[36:37] neg_lo:[0,1] neg_hi:[0,1]
	v_pk_fma_f32 v[58:59], v[56:57], s[6:7], v[38:39] op_sel:[1,0,0] op_sel_hi:[0,0,1] neg_lo:[1,0,0] neg_hi:[1,0,0]
	v_pk_fma_f32 v[38:39], v[56:57], s[6:7], v[38:39] op_sel:[1,0,0] op_sel_hi:[0,0,1]
	v_pk_fma_f32 v[38:39], v[60:61], s[8:9], v[38:39] op_sel:[1,0,0] op_sel_hi:[0,0,1]
	v_pk_fma_f32 v[58:59], v[60:61], s[8:9], v[58:59] op_sel:[1,0,0] op_sel_hi:[0,0,1] neg_lo:[1,0,0] neg_hi:[1,0,0]
	v_pk_add_f32 v[64:65], v[54:55], v[18:19]
	v_mov_b32_e32 v62, v58
	v_mov_b32_e32 v63, v39
	v_pk_add_f32 v[64:65], v[64:65], v[52:53]
	v_mov_b32_e32 v39, v59
	v_pk_fma_f32 v[62:63], v[16:17], s[12:13], v[62:63] op_sel_hi:[1,0,1]
	v_pk_add_f32 v[64:65], v[64:65], v[36:37]
	v_pk_fma_f32 v[16:17], v[16:17], s[12:13], v[38:39] op_sel_hi:[1,0,1]
	v_pk_add_f32 v[64:65], v[34:35], v[64:65]
	global_store_dwordx2 v[44:45], v[16:17], off
	v_pk_add_f32 v[16:17], v[52:53], v[18:19] neg_lo:[0,1] neg_hi:[0,1]
	v_pk_add_f32 v[18:19], v[18:19], v[34:35]
	v_add_u32_e32 v0, 0x14a, v118
	global_store_dwordx2 v[32:33], v[64:65], off
	v_pk_add_f32 v[32:33], v[36:37], v[34:35] neg_lo:[0,1] neg_hi:[0,1]
	v_pk_fma_f32 v[18:19], v[18:19], 0.5, v[54:55] op_sel_hi:[1,0,1] neg_lo:[1,0,0] neg_hi:[1,0,0]
	v_mul_hi_u32 v4, v0, s0
	v_pk_add_f32 v[16:17], v[16:17], v[32:33]
	v_pk_fma_f32 v[32:33], v[60:61], s[6:7], v[18:19] op_sel:[1,0,0] op_sel_hi:[0,0,1]
	v_pk_fma_f32 v[18:19], v[60:61], s[6:7], v[18:19] op_sel:[1,0,0] op_sel_hi:[0,0,1] neg_lo:[1,0,0] neg_hi:[1,0,0]
	v_lshrrev_b32_e32 v4, 7, v4
	v_pk_fma_f32 v[18:19], v[56:57], s[8:9], v[18:19] op_sel:[1,0,0] op_sel_hi:[0,0,1]
	v_pk_fma_f32 v[32:33], v[56:57], s[8:9], v[32:33] op_sel:[1,0,0] op_sel_hi:[0,0,1] neg_lo:[1,0,0] neg_hi:[1,0,0]
	v_mul_u32_u24_e32 v7, 0x181, v4
	v_mov_b32_e32 v34, v32
	v_mov_b32_e32 v35, v19
	;; [unrolled: 1-line block ×3, first 2 shown]
	v_sub_u32_e32 v0, v0, v7
	v_pk_fma_f32 v[34:35], v[16:17], s[12:13], v[34:35] op_sel_hi:[1,0,1]
	v_pk_fma_f32 v[16:17], v[16:17], s[12:13], v[18:19] op_sel_hi:[1,0,1]
	v_mad_u32_u24 v0, v4, s1, v0
	global_store_dwordx2 v[46:47], v[16:17], off
	global_store_dwordx2 v[48:49], v[34:35], off
	;; [unrolled: 1-line block ×3, first 2 shown]
	v_lshl_add_u64 v[16:17], v[0:1], 3, v[2:3]
	v_add_u32_e32 v18, 0x181, v0
	v_mov_b32_e32 v19, v1
	v_add_u32_e32 v32, 0x302, v0
	v_mov_b32_e32 v33, v1
	;; [unrolled: 2-line block ×4, first 2 shown]
	v_lshl_add_u64 v[18:19], v[18:19], 3, v[2:3]
	v_lshl_add_u64 v[32:33], v[32:33], 3, v[2:3]
	;; [unrolled: 1-line block ×4, first 2 shown]
	v_mov_b32_e32 v2, v15
	v_mov_b32_e32 v4, v15
	s_waitcnt vmcnt(5)
	v_pk_mul_f32 v[14:15], v[42:43], v[10:11] op_sel_hi:[1,0]
	s_nop 0
	v_pk_fma_f32 v[2:3], v[2:3], v[42:43], v[14:15] op_sel:[0,0,1] op_sel_hi:[1,1,0] neg_lo:[0,0,1] neg_hi:[0,0,1]
	v_pk_fma_f32 v[14:15], v[4:5], v[42:43], v[14:15] op_sel:[0,0,1] op_sel_hi:[0,1,0]
	v_mov_b32_e32 v3, v15
	v_pk_mul_f32 v[14:15], v[28:29], v[24:25] op_sel_hi:[1,0]
	v_mov_b32_e32 v4, v13
	v_pk_fma_f32 v[24:25], v[8:9], v[28:29], v[14:15] op_sel:[0,0,1] op_sel_hi:[1,1,0] neg_lo:[0,0,1] neg_hi:[0,0,1]
	v_pk_fma_f32 v[8:9], v[8:9], v[28:29], v[14:15] op_sel:[0,0,1] op_sel_hi:[0,1,0]
	v_mov_b32_e32 v25, v9
	v_pk_mul_f32 v[8:9], v[40:41], v[22:23] op_sel_hi:[1,0]
	v_pk_add_f32 v[22:23], v[2:3], v[24:25] neg_lo:[0,1] neg_hi:[0,1]
	v_pk_fma_f32 v[14:15], v[6:7], v[40:41], v[8:9] op_sel:[0,0,1] op_sel_hi:[1,1,0] neg_lo:[0,0,1] neg_hi:[0,0,1]
	v_pk_fma_f32 v[6:7], v[6:7], v[40:41], v[8:9] op_sel:[0,0,1] op_sel_hi:[0,1,0]
	v_mov_b32_e32 v8, v21
	v_mov_b32_e32 v6, v13
	v_pk_mul_f32 v[8:9], v[30:31], v[8:9] op_sel_hi:[1,0]
	v_mov_b32_e32 v15, v7
	v_pk_fma_f32 v[12:13], v[4:5], v[30:31], v[8:9] op_sel:[0,0,1] op_sel_hi:[1,1,0] neg_lo:[0,0,1] neg_hi:[0,0,1]
	v_pk_fma_f32 v[6:7], v[6:7], v[30:31], v[8:9] op_sel:[0,0,1] op_sel_hi:[0,1,0]
	v_mov_b32_e32 v13, v7
	v_pk_add_f32 v[6:7], v[14:15], v[2:3] neg_lo:[0,1] neg_hi:[0,1]
	v_pk_add_f32 v[8:9], v[12:13], v[24:25] neg_lo:[0,1] neg_hi:[0,1]
	v_mov_b32_e32 v4, v11
	v_pk_add_f32 v[6:7], v[6:7], v[8:9]
	v_pk_add_f32 v[8:9], v[2:3], v[24:25]
	v_pk_add_f32 v[10:11], v[14:15], v[12:13] neg_lo:[0,1] neg_hi:[0,1]
	v_pk_fma_f32 v[8:9], v[8:9], 0.5, v[4:5] op_sel_hi:[1,0,1] neg_lo:[1,0,0] neg_hi:[1,0,0]
	v_pk_add_f32 v[28:29], v[4:5], v[14:15]
	v_pk_fma_f32 v[20:21], v[10:11], s[6:7], v[8:9] op_sel:[1,0,0] op_sel_hi:[0,0,1] neg_lo:[1,0,0] neg_hi:[1,0,0]
	v_pk_fma_f32 v[8:9], v[10:11], s[6:7], v[8:9] op_sel:[1,0,0] op_sel_hi:[0,0,1]
	v_pk_fma_f32 v[8:9], v[22:23], s[8:9], v[8:9] op_sel:[1,0,0] op_sel_hi:[0,0,1]
	v_pk_fma_f32 v[20:21], v[22:23], s[8:9], v[20:21] op_sel:[1,0,0] op_sel_hi:[0,0,1] neg_lo:[1,0,0] neg_hi:[1,0,0]
	v_mov_b32_e32 v26, v20
	v_mov_b32_e32 v27, v9
	;; [unrolled: 1-line block ×3, first 2 shown]
	v_pk_fma_f32 v[26:27], v[6:7], s[12:13], v[26:27] op_sel_hi:[1,0,1]
	v_pk_fma_f32 v[6:7], v[6:7], s[12:13], v[8:9] op_sel_hi:[1,0,1]
	v_pk_add_f32 v[28:29], v[28:29], v[2:3]
	global_store_dwordx2 v[18:19], v[6:7], off
	v_pk_add_f32 v[2:3], v[2:3], v[14:15] neg_lo:[0,1] neg_hi:[0,1]
	v_pk_add_f32 v[6:7], v[24:25], v[12:13] neg_lo:[0,1] neg_hi:[0,1]
	v_pk_add_f32 v[28:29], v[28:29], v[24:25]
	v_pk_add_f32 v[2:3], v[2:3], v[6:7]
	;; [unrolled: 1-line block ×4, first 2 shown]
	v_pk_fma_f32 v[4:5], v[6:7], 0.5, v[4:5] op_sel_hi:[1,0,1] neg_lo:[1,0,0] neg_hi:[1,0,0]
	global_store_dwordx2 v[16:17], v[28:29], off
	v_pk_fma_f32 v[6:7], v[22:23], s[6:7], v[4:5] op_sel:[1,0,0] op_sel_hi:[0,0,1]
	v_pk_fma_f32 v[4:5], v[22:23], s[6:7], v[4:5] op_sel:[1,0,0] op_sel_hi:[0,0,1] neg_lo:[1,0,0] neg_hi:[1,0,0]
	v_pk_fma_f32 v[4:5], v[10:11], s[8:9], v[4:5] op_sel:[1,0,0] op_sel_hi:[0,0,1]
	v_pk_fma_f32 v[6:7], v[10:11], s[8:9], v[6:7] op_sel:[1,0,0] op_sel_hi:[0,0,1] neg_lo:[1,0,0] neg_hi:[1,0,0]
	v_mov_b32_e32 v8, v6
	v_mov_b32_e32 v9, v5
	;; [unrolled: 1-line block ×3, first 2 shown]
	v_pk_fma_f32 v[8:9], v[2:3], s[12:13], v[8:9] op_sel_hi:[1,0,1]
	v_pk_fma_f32 v[2:3], v[2:3], s[12:13], v[4:5] op_sel_hi:[1,0,1]
	global_store_dwordx2 v[32:33], v[2:3], off
	global_store_dwordx2 v[34:35], v[8:9], off
	;; [unrolled: 1-line block ×3, first 2 shown]
.LBB0_23:
	s_endpgm
	.section	.rodata,"a",@progbits
	.p2align	6, 0x0
	.amdhsa_kernel fft_rtc_fwd_len1925_factors_7_11_5_5_wgs_55_tpt_55_halfLds_sp_op_CI_CI_unitstride_sbrr_dirReg
		.amdhsa_group_segment_fixed_size 0
		.amdhsa_private_segment_fixed_size 0
		.amdhsa_kernarg_size 104
		.amdhsa_user_sgpr_count 2
		.amdhsa_user_sgpr_dispatch_ptr 0
		.amdhsa_user_sgpr_queue_ptr 0
		.amdhsa_user_sgpr_kernarg_segment_ptr 1
		.amdhsa_user_sgpr_dispatch_id 0
		.amdhsa_user_sgpr_kernarg_preload_length 0
		.amdhsa_user_sgpr_kernarg_preload_offset 0
		.amdhsa_user_sgpr_private_segment_size 0
		.amdhsa_uses_dynamic_stack 0
		.amdhsa_enable_private_segment 0
		.amdhsa_system_sgpr_workgroup_id_x 1
		.amdhsa_system_sgpr_workgroup_id_y 0
		.amdhsa_system_sgpr_workgroup_id_z 0
		.amdhsa_system_sgpr_workgroup_info 0
		.amdhsa_system_vgpr_workitem_id 0
		.amdhsa_next_free_vgpr 182
		.amdhsa_next_free_sgpr 28
		.amdhsa_accum_offset 184
		.amdhsa_reserve_vcc 1
		.amdhsa_float_round_mode_32 0
		.amdhsa_float_round_mode_16_64 0
		.amdhsa_float_denorm_mode_32 3
		.amdhsa_float_denorm_mode_16_64 3
		.amdhsa_dx10_clamp 1
		.amdhsa_ieee_mode 1
		.amdhsa_fp16_overflow 0
		.amdhsa_tg_split 0
		.amdhsa_exception_fp_ieee_invalid_op 0
		.amdhsa_exception_fp_denorm_src 0
		.amdhsa_exception_fp_ieee_div_zero 0
		.amdhsa_exception_fp_ieee_overflow 0
		.amdhsa_exception_fp_ieee_underflow 0
		.amdhsa_exception_fp_ieee_inexact 0
		.amdhsa_exception_int_div_zero 0
	.end_amdhsa_kernel
	.text
.Lfunc_end0:
	.size	fft_rtc_fwd_len1925_factors_7_11_5_5_wgs_55_tpt_55_halfLds_sp_op_CI_CI_unitstride_sbrr_dirReg, .Lfunc_end0-fft_rtc_fwd_len1925_factors_7_11_5_5_wgs_55_tpt_55_halfLds_sp_op_CI_CI_unitstride_sbrr_dirReg
                                        ; -- End function
	.section	.AMDGPU.csdata,"",@progbits
; Kernel info:
; codeLenInByte = 23044
; NumSgprs: 34
; NumVgprs: 182
; NumAgprs: 0
; TotalNumVgprs: 182
; ScratchSize: 0
; MemoryBound: 0
; FloatMode: 240
; IeeeMode: 1
; LDSByteSize: 0 bytes/workgroup (compile time only)
; SGPRBlocks: 4
; VGPRBlocks: 22
; NumSGPRsForWavesPerEU: 34
; NumVGPRsForWavesPerEU: 182
; AccumOffset: 184
; Occupancy: 2
; WaveLimiterHint : 1
; COMPUTE_PGM_RSRC2:SCRATCH_EN: 0
; COMPUTE_PGM_RSRC2:USER_SGPR: 2
; COMPUTE_PGM_RSRC2:TRAP_HANDLER: 0
; COMPUTE_PGM_RSRC2:TGID_X_EN: 1
; COMPUTE_PGM_RSRC2:TGID_Y_EN: 0
; COMPUTE_PGM_RSRC2:TGID_Z_EN: 0
; COMPUTE_PGM_RSRC2:TIDIG_COMP_CNT: 0
; COMPUTE_PGM_RSRC3_GFX90A:ACCUM_OFFSET: 45
; COMPUTE_PGM_RSRC3_GFX90A:TG_SPLIT: 0
	.text
	.p2alignl 6, 3212836864
	.fill 256, 4, 3212836864
	.type	__hip_cuid_30bad35a99d650ff,@object ; @__hip_cuid_30bad35a99d650ff
	.section	.bss,"aw",@nobits
	.globl	__hip_cuid_30bad35a99d650ff
__hip_cuid_30bad35a99d650ff:
	.byte	0                               ; 0x0
	.size	__hip_cuid_30bad35a99d650ff, 1

	.ident	"AMD clang version 19.0.0git (https://github.com/RadeonOpenCompute/llvm-project roc-6.4.0 25133 c7fe45cf4b819c5991fe208aaa96edf142730f1d)"
	.section	".note.GNU-stack","",@progbits
	.addrsig
	.addrsig_sym __hip_cuid_30bad35a99d650ff
	.amdgpu_metadata
---
amdhsa.kernels:
  - .agpr_count:     0
    .args:
      - .actual_access:  read_only
        .address_space:  global
        .offset:         0
        .size:           8
        .value_kind:     global_buffer
      - .offset:         8
        .size:           8
        .value_kind:     by_value
      - .actual_access:  read_only
        .address_space:  global
        .offset:         16
        .size:           8
        .value_kind:     global_buffer
      - .actual_access:  read_only
        .address_space:  global
        .offset:         24
        .size:           8
        .value_kind:     global_buffer
      - .actual_access:  read_only
        .address_space:  global
        .offset:         32
        .size:           8
        .value_kind:     global_buffer
      - .offset:         40
        .size:           8
        .value_kind:     by_value
      - .actual_access:  read_only
        .address_space:  global
        .offset:         48
        .size:           8
        .value_kind:     global_buffer
      - .actual_access:  read_only
        .address_space:  global
        .offset:         56
        .size:           8
        .value_kind:     global_buffer
      - .offset:         64
        .size:           4
        .value_kind:     by_value
      - .actual_access:  read_only
        .address_space:  global
        .offset:         72
        .size:           8
        .value_kind:     global_buffer
      - .actual_access:  read_only
        .address_space:  global
        .offset:         80
        .size:           8
        .value_kind:     global_buffer
      - .actual_access:  read_only
        .address_space:  global
        .offset:         88
        .size:           8
        .value_kind:     global_buffer
      - .actual_access:  write_only
        .address_space:  global
        .offset:         96
        .size:           8
        .value_kind:     global_buffer
    .group_segment_fixed_size: 0
    .kernarg_segment_align: 8
    .kernarg_segment_size: 104
    .language:       OpenCL C
    .language_version:
      - 2
      - 0
    .max_flat_workgroup_size: 55
    .name:           fft_rtc_fwd_len1925_factors_7_11_5_5_wgs_55_tpt_55_halfLds_sp_op_CI_CI_unitstride_sbrr_dirReg
    .private_segment_fixed_size: 0
    .sgpr_count:     34
    .sgpr_spill_count: 0
    .symbol:         fft_rtc_fwd_len1925_factors_7_11_5_5_wgs_55_tpt_55_halfLds_sp_op_CI_CI_unitstride_sbrr_dirReg.kd
    .uniform_work_group_size: 1
    .uses_dynamic_stack: false
    .vgpr_count:     182
    .vgpr_spill_count: 0
    .wavefront_size: 64
amdhsa.target:   amdgcn-amd-amdhsa--gfx950
amdhsa.version:
  - 1
  - 2
...

	.end_amdgpu_metadata
